;; amdgpu-corpus repo=ROCm/rocFFT kind=compiled arch=gfx1030 opt=O3
	.text
	.amdgcn_target "amdgcn-amd-amdhsa--gfx1030"
	.amdhsa_code_object_version 6
	.protected	bluestein_single_back_len255_dim1_sp_op_CI_CI ; -- Begin function bluestein_single_back_len255_dim1_sp_op_CI_CI
	.globl	bluestein_single_back_len255_dim1_sp_op_CI_CI
	.p2align	8
	.type	bluestein_single_back_len255_dim1_sp_op_CI_CI,@function
bluestein_single_back_len255_dim1_sp_op_CI_CI: ; @bluestein_single_back_len255_dim1_sp_op_CI_CI
; %bb.0:
	s_load_dwordx4 s[0:3], s[4:5], 0x28
	v_mul_u32_u24_e32 v1, 0xf10, v0
	v_lshrrev_b32_e32 v1, 16, v1
	v_mad_u64_u32 v[68:69], null, s6, 3, v[1:2]
	v_mov_b32_e32 v69, 0
	s_waitcnt lgkmcnt(0)
	v_cmp_gt_u64_e32 vcc_lo, s[0:1], v[68:69]
	s_and_saveexec_b32 s0, vcc_lo
	s_cbranch_execz .LBB0_15
; %bb.1:
	v_mul_hi_u32 v2, 0xaaaaaaab, v68
	v_mul_lo_u16 v1, v1, 17
	s_clause 0x1
	s_load_dwordx2 s[12:13], s[4:5], 0x0
	s_load_dwordx2 s[14:15], s[4:5], 0x38
	v_sub_nc_u16 v0, v0, v1
	v_lshrrev_b32_e32 v2, 1, v2
	v_and_b32_e32 v84, 0xffff, v0
	v_cmp_gt_u16_e32 vcc_lo, 15, v0
	v_lshl_add_u32 v2, v2, 1, v2
	v_lshlrev_b32_e32 v82, 3, v84
	v_or_b32_e32 v81, 0xf0, v84
	v_sub_nc_u32_e32 v1, v68, v2
	v_mul_u32_u24_e32 v83, 0xff, v1
	v_lshlrev_b32_e32 v85, 3, v83
	s_and_saveexec_b32 s1, vcc_lo
	s_cbranch_execz .LBB0_3
; %bb.2:
	s_load_dwordx2 s[6:7], s[4:5], 0x18
	v_lshl_add_u32 v73, v84, 3, v85
	v_add_nc_u32_e32 v74, v85, v82
	s_waitcnt lgkmcnt(0)
	s_load_dwordx4 s[8:11], s[6:7], 0x0
	s_clause 0xb
	global_load_dwordx2 v[2:3], v82, s[12:13]
	global_load_dwordx2 v[4:5], v82, s[12:13] offset:120
	global_load_dwordx2 v[6:7], v82, s[12:13] offset:240
	global_load_dwordx2 v[8:9], v82, s[12:13] offset:360
	global_load_dwordx2 v[12:13], v82, s[12:13] offset:480
	global_load_dwordx2 v[14:15], v82, s[12:13] offset:600
	global_load_dwordx2 v[16:17], v82, s[12:13] offset:720
	global_load_dwordx2 v[18:19], v82, s[12:13] offset:840
	global_load_dwordx2 v[20:21], v82, s[12:13] offset:960
	global_load_dwordx2 v[22:23], v82, s[12:13] offset:1080
	global_load_dwordx2 v[24:25], v82, s[12:13] offset:1200
	global_load_dwordx2 v[26:27], v82, s[12:13] offset:1320
	s_waitcnt lgkmcnt(0)
	v_mad_u64_u32 v[0:1], null, s10, v68, 0
	v_mad_u64_u32 v[10:11], null, s8, v84, 0
	s_mul_i32 s0, s9, 0x78
	s_mul_hi_u32 s6, s8, 0x78
	s_mul_i32 s7, s8, 0x78
	s_add_i32 s6, s6, s0
	s_waitcnt vmcnt(7)
	v_mad_u64_u32 v[31:32], null, s9, v84, v[11:12]
	s_clause 0x2
	global_load_dwordx2 v[32:33], v82, s[12:13] offset:1440
	global_load_dwordx2 v[34:35], v82, s[12:13] offset:1560
	;; [unrolled: 1-line block ×3, first 2 shown]
	v_mad_u64_u32 v[28:29], null, s11, v68, v[1:2]
	v_mad_u64_u32 v[29:30], null, s8, v81, 0
	v_mov_b32_e32 v11, v31
	v_mov_b32_e32 v1, v28
	;; [unrolled: 1-line block ×3, first 2 shown]
	v_lshlrev_b64 v[10:11], 3, v[10:11]
	v_lshlrev_b64 v[0:1], 3, v[0:1]
	v_mad_u64_u32 v[30:31], null, s9, v81, v[28:29]
	v_add_co_u32 v31, s0, s2, v0
	v_add_co_ci_u32_e64 v38, s0, s3, v1, s0
	v_add_co_u32 v0, s0, v31, v10
	v_add_co_ci_u32_e64 v1, s0, v38, v11, s0
	v_lshlrev_b64 v[10:11], 3, v[29:30]
	v_add_co_u32 v28, s0, v0, s7
	v_add_co_ci_u32_e64 v29, s0, s6, v1, s0
	global_load_dwordx2 v[0:1], v[0:1], off
	v_add_co_u32 v10, s0, v31, v10
	v_add_co_ci_u32_e64 v11, s0, v38, v11, s0
	v_add_co_u32 v30, s0, v28, s7
	v_add_co_ci_u32_e64 v31, s0, s6, v29, s0
	global_load_dwordx2 v[10:11], v[10:11], off
	v_add_co_u32 v38, s0, v30, s7
	v_add_co_ci_u32_e64 v39, s0, s6, v31, s0
	v_add_co_u32 v40, s0, v38, s7
	v_add_co_ci_u32_e64 v41, s0, s6, v39, s0
	s_clause 0x2
	global_load_dwordx2 v[28:29], v[28:29], off
	global_load_dwordx2 v[30:31], v[30:31], off
	;; [unrolled: 1-line block ×3, first 2 shown]
	v_add_co_u32 v42, s0, v40, s7
	v_add_co_ci_u32_e64 v43, s0, s6, v41, s0
	global_load_dwordx2 v[40:41], v[40:41], off
	v_add_co_u32 v44, s0, v42, s7
	v_add_co_ci_u32_e64 v45, s0, s6, v43, s0
	global_load_dwordx2 v[42:43], v[42:43], off
	;; [unrolled: 3-line block ×11, first 2 shown]
	s_clause 0x1
	global_load_dwordx2 v[64:65], v82, s[12:13] offset:1680
	global_load_dwordx2 v[66:67], v82, s[12:13] offset:1800
	global_load_dwordx2 v[62:63], v[62:63], off
	s_waitcnt vmcnt(18)
	v_mul_f32_e32 v70, v0, v3
	v_mul_f32_e32 v69, v1, v3
	v_fma_f32 v70, v1, v2, -v70
	v_fmac_f32_e32 v69, v0, v2
	s_waitcnt vmcnt(17)
	v_mul_f32_e32 v3, v11, v37
	v_mul_f32_e32 v37, v10, v37
	ds_write_b64 v73, v[69:70]
	v_fmac_f32_e32 v3, v10, v36
	s_waitcnt vmcnt(16)
	v_mul_f32_e32 v0, v29, v5
	v_mul_f32_e32 v1, v28, v5
	s_waitcnt vmcnt(15)
	v_mul_f32_e32 v2, v30, v7
	v_mul_f32_e32 v71, v31, v7
	v_fmac_f32_e32 v0, v28, v4
	v_fma_f32 v1, v29, v4, -v1
	v_fma_f32 v72, v31, v6, -v2
	v_fmac_f32_e32 v71, v30, v6
	s_waitcnt vmcnt(14)
	v_mul_f32_e32 v4, v39, v9
	v_mul_f32_e32 v2, v38, v9
	s_waitcnt vmcnt(13)
	v_mul_f32_e32 v6, v41, v13
	ds_write2_b64 v74, v[0:1], v[71:72] offset0:15 offset1:30
	v_fmac_f32_e32 v4, v38, v8
	v_fma_f32 v5, v39, v8, -v2
	v_mul_f32_e32 v1, v40, v13
	s_waitcnt vmcnt(12)
	v_mul_f32_e32 v0, v43, v15
	v_mul_f32_e32 v2, v42, v15
	s_waitcnt vmcnt(11)
	v_mul_f32_e32 v8, v45, v17
	v_mul_f32_e32 v9, v44, v17
	v_fmac_f32_e32 v6, v40, v12
	v_fma_f32 v7, v41, v12, -v1
	v_fmac_f32_e32 v0, v42, v14
	v_fma_f32 v1, v43, v14, -v2
	;; [unrolled: 2-line block ×3, first 2 shown]
	s_waitcnt vmcnt(10)
	v_mul_f32_e32 v2, v46, v19
	ds_write2_b64 v74, v[4:5], v[6:7] offset0:45 offset1:60
	v_mul_f32_e32 v12, v47, v19
	s_waitcnt vmcnt(9)
	v_mul_f32_e32 v5, v49, v21
	ds_write2_b64 v74, v[0:1], v[8:9] offset0:75 offset1:90
	v_fma_f32 v13, v47, v18, -v2
	v_mul_f32_e32 v1, v48, v21
	s_waitcnt vmcnt(8)
	v_mul_f32_e32 v2, v50, v23
	v_mul_f32_e32 v0, v51, v23
	v_fmac_f32_e32 v12, v46, v18
	s_waitcnt vmcnt(7)
	v_mul_f32_e32 v4, v52, v25
	v_fma_f32 v6, v49, v20, -v1
	v_fma_f32 v1, v51, v22, -v2
	v_mul_f32_e32 v7, v53, v25
	v_fmac_f32_e32 v5, v48, v20
	v_fma_f32 v8, v53, v24, -v4
	s_waitcnt vmcnt(6)
	v_mul_f32_e32 v2, v54, v27
	v_mul_f32_e32 v9, v55, v27
	v_fmac_f32_e32 v0, v50, v22
	v_fmac_f32_e32 v7, v52, v24
	s_waitcnt vmcnt(5)
	v_mul_f32_e32 v4, v56, v33
	v_mul_f32_e32 v14, v57, v33
	v_fma_f32 v10, v55, v26, -v2
	v_fmac_f32_e32 v9, v54, v26
	s_waitcnt vmcnt(4)
	v_mul_f32_e32 v16, v59, v35
	v_fma_f32 v15, v57, v32, -v4
	v_mul_f32_e32 v2, v58, v35
	s_waitcnt vmcnt(2)
	v_mul_f32_e32 v18, v61, v65
	v_mul_f32_e32 v4, v60, v65
	s_waitcnt vmcnt(0)
	v_mul_f32_e32 v20, v63, v67
	v_mul_f32_e32 v21, v62, v67
	v_fmac_f32_e32 v14, v56, v32
	v_fmac_f32_e32 v16, v58, v34
	v_fma_f32 v17, v59, v34, -v2
	v_fmac_f32_e32 v18, v60, v64
	v_fma_f32 v19, v61, v64, -v4
	;; [unrolled: 2-line block ×3, first 2 shown]
	v_fma_f32 v4, v11, v36, -v37
	ds_write2_b64 v74, v[12:13], v[5:6] offset0:105 offset1:120
	ds_write2_b64 v74, v[0:1], v[7:8] offset0:135 offset1:150
	;; [unrolled: 1-line block ×5, first 2 shown]
.LBB0_3:
	s_or_b32 exec_lo, exec_lo, s1
	s_clause 0x1
	s_load_dwordx2 s[0:1], s[4:5], 0x20
	s_load_dwordx2 s[2:3], s[4:5], 0x8
	v_mov_b32_e32 v0, 0
	v_mov_b32_e32 v1, 0
	s_waitcnt lgkmcnt(0)
	s_barrier
	buffer_gl0_inv
                                        ; implicit-def: $vgpr18
                                        ; implicit-def: $vgpr8
                                        ; implicit-def: $vgpr12
                                        ; implicit-def: $vgpr4
                                        ; implicit-def: $vgpr32
                                        ; implicit-def: $vgpr22
                                        ; implicit-def: $vgpr26
                                        ; implicit-def: $vgpr30
	s_and_saveexec_b32 s4, vcc_lo
	s_cbranch_execz .LBB0_5
; %bb.4:
	v_lshl_add_u32 v32, v83, 3, v82
	ds_read2_b64 v[0:3], v32 offset1:15
	ds_read2_b64 v[28:31], v32 offset0:30 offset1:45
	ds_read2_b64 v[24:27], v32 offset0:60 offset1:75
	ds_read2_b64 v[20:23], v32 offset0:90 offset1:105
	ds_read2_b64 v[16:19], v32 offset0:120 offset1:135
	ds_read2_b64 v[8:11], v32 offset0:150 offset1:165
	ds_read2_b64 v[12:15], v32 offset0:180 offset1:195
	ds_read2_b64 v[4:7], v32 offset0:210 offset1:225
	ds_read_b64 v[32:33], v32 offset:1920
.LBB0_5:
	s_or_b32 exec_lo, exec_lo, s4
	s_waitcnt lgkmcnt(0)
	v_sub_f32_e32 v66, v3, v33
	v_sub_f32_e32 v74, v2, v32
	v_add_f32_e32 v34, v32, v2
	v_add_f32_e32 v36, v33, v3
	v_sub_f32_e32 v67, v29, v7
	v_mul_f32_e32 v50, 0xbeb8f4ab, v66
	v_sub_f32_e32 v75, v28, v6
	v_mul_f32_e32 v53, 0xbeb8f4ab, v74
	v_add_f32_e32 v35, v6, v28
	v_mul_f32_e32 v51, 0xbf2c7751, v67
	v_fmamk_f32 v38, v34, 0x3f6eb680, v50
	v_add_f32_e32 v37, v7, v29
	v_mul_f32_e32 v54, 0xbf2c7751, v75
	v_fma_f32 v39, 0x3f6eb680, v36, -v53
	v_sub_f32_e32 v73, v31, v5
	v_fmamk_f32 v40, v35, 0x3f3d2fb0, v51
	v_add_f32_e32 v41, v38, v0
	v_fma_f32 v42, 0x3f3d2fb0, v37, -v54
	v_add_f32_e32 v39, v39, v1
	v_add_f32_e32 v38, v4, v30
	v_mul_f32_e32 v52, 0xbf65296c, v73
	v_sub_f32_e32 v77, v30, v4
	v_add_f32_e32 v41, v40, v41
	v_add_f32_e32 v42, v42, v39
	;; [unrolled: 1-line block ×3, first 2 shown]
	v_sub_f32_e32 v76, v25, v15
	v_fmamk_f32 v43, v38, 0x3ee437d1, v52
	v_mul_f32_e32 v59, 0xbf65296c, v77
	v_sub_f32_e32 v78, v24, v14
	v_add_f32_e32 v40, v14, v24
	v_mul_f32_e32 v55, 0xbf7ee86f, v76
	v_add_f32_e32 v43, v43, v41
	v_fma_f32 v44, 0x3ee437d1, v39, -v59
	v_add_f32_e32 v41, v15, v25
	v_mul_f32_e32 v60, 0xbf7ee86f, v78
	v_sub_f32_e32 v79, v27, v13
	v_fmamk_f32 v45, v40, 0x3dbcf732, v55
	v_add_f32_e32 v44, v44, v42
	v_add_f32_e32 v42, v12, v26
	v_fma_f32 v46, 0x3dbcf732, v41, -v60
	v_mul_f32_e32 v57, 0xbf763a35, v79
	v_sub_f32_e32 v86, v26, v12
	v_add_f32_e32 v45, v45, v43
	v_sub_f32_e32 v80, v21, v11
	v_add_f32_e32 v46, v46, v44
	v_add_f32_e32 v44, v13, v27
	v_fmamk_f32 v47, v42, 0xbe8c1d8e, v57
	v_mul_f32_e32 v61, 0xbf763a35, v86
	v_sub_f32_e32 v89, v20, v10
	v_add_f32_e32 v43, v10, v20
	v_mul_f32_e32 v56, 0xbf4c4adb, v80
	v_add_f32_e32 v48, v47, v45
	v_fma_f32 v47, 0xbe8c1d8e, v44, -v61
	v_add_f32_e32 v45, v11, v21
	v_mul_f32_e32 v62, 0xbf4c4adb, v89
	v_sub_f32_e32 v88, v23, v9
	v_sub_f32_e32 v99, v22, v8
	v_fmamk_f32 v49, v43, 0xbf1a4643, v56
	v_add_f32_e32 v64, v47, v46
	v_fma_f32 v65, 0xbf1a4643, v45, -v62
	v_add_f32_e32 v46, v8, v22
	v_mul_f32_e32 v58, 0xbf06c442, v88
	v_add_f32_e32 v47, v9, v23
	v_mul_f32_e32 v63, 0xbf06c442, v99
	v_add_f32_e32 v48, v49, v48
	v_add_f32_e32 v64, v65, v64
	v_fmamk_f32 v49, v46, 0xbf59a7d5, v58
	v_mul_f32_e32 v90, 0xbf2c7751, v66
	v_fma_f32 v65, 0xbf59a7d5, v47, -v63
	v_mul_f32_e32 v104, 0xbf2c7751, v74
	v_mul_f32_e32 v93, 0xbf7ee86f, v67
	v_add_f32_e32 v69, v49, v48
	v_fmamk_f32 v49, v34, 0x3f3d2fb0, v90
	v_add_f32_e32 v70, v65, v64
	v_fma_f32 v64, 0x3f3d2fb0, v36, -v104
	v_mul_f32_e32 v106, 0xbf7ee86f, v75
	v_fmamk_f32 v65, v35, 0x3dbcf732, v93
	v_add_f32_e32 v49, v49, v0
	v_mul_f32_e32 v94, 0xbf4c4adb, v73
	v_add_f32_e32 v71, v64, v1
	v_fma_f32 v72, 0x3dbcf732, v37, -v106
	v_mul_f32_e32 v100, 0xbf4c4adb, v77
	v_add_f32_e32 v49, v65, v49
	v_mul_f32_e32 v95, 0xbe3c28d5, v76
	v_mul_f32_e32 v103, 0xbe3c28d5, v78
	v_add_f32_e32 v65, v72, v71
	v_fmamk_f32 v71, v38, 0xbf1a4643, v94
	v_fma_f32 v72, 0xbf1a4643, v39, -v100
	v_mul_f32_e32 v96, 0x3f06c442, v79
	v_mul_f32_e32 v105, 0x3f06c442, v86
	;; [unrolled: 1-line block ×3, first 2 shown]
	v_add_f32_e32 v49, v71, v49
	v_add_f32_e32 v65, v72, v65
	v_fmamk_f32 v71, v40, 0xbf7ba420, v95
	v_fma_f32 v72, 0xbf7ba420, v41, -v103
	v_fma_f32 v87, 0xbf59a7d5, v44, -v105
	v_mul_f32_e32 v101, 0x3f763a35, v89
	v_sub_f32_e32 v98, v17, v19
	v_add_f32_e32 v71, v71, v49
	v_add_f32_e32 v65, v72, v65
	v_fmamk_f32 v72, v42, 0xbf59a7d5, v96
	v_sub_f32_e32 v107, v16, v18
	v_fma_f32 v97, 0xbe8c1d8e, v45, -v101
	v_mul_f32_e32 v92, 0x3f65296c, v88
	v_mul_f32_e32 v102, 0x3f65296c, v99
	v_add_f32_e32 v71, v72, v71
	v_add_f32_e32 v72, v87, v65
	v_fmamk_f32 v87, v43, 0xbe8c1d8e, v91
	v_add_f32_e32 v48, v18, v16
	v_mul_f32_e32 v64, 0xbe3c28d5, v98
	v_add_f32_e32 v49, v19, v17
	v_mul_f32_e32 v65, 0xbe3c28d5, v107
	v_add_f32_e32 v71, v87, v71
	v_add_f32_e32 v72, v97, v72
	v_fmamk_f32 v109, v46, 0x3ee437d1, v92
	v_fma_f32 v110, 0x3ee437d1, v47, -v102
	v_mul_f32_e32 v87, 0x3eb8f4ab, v98
	v_mul_f32_e32 v97, 0x3eb8f4ab, v107
	v_fmamk_f32 v108, v48, 0xbf7ba420, v64
	v_fma_f32 v111, 0xbf7ba420, v49, -v65
	v_add_f32_e32 v71, v109, v71
	v_add_f32_e32 v72, v110, v72
	v_fmamk_f32 v109, v48, 0x3f6eb680, v87
	v_fma_f32 v110, 0x3f6eb680, v49, -v97
	v_add_f32_e32 v69, v108, v69
	v_add_f32_e32 v70, v111, v70
	;; [unrolled: 1-line block ×4, first 2 shown]
	s_barrier
	buffer_gl0_inv
	s_and_saveexec_b32 s4, vcc_lo
	s_cbranch_execz .LBB0_7
; %bb.6:
	v_add_f32_e32 v2, v2, v0
	v_add_f32_e32 v3, v3, v1
	v_mul_f32_e32 v110, 0xbe3c28d5, v74
	v_mul_f32_e32 v109, 0x3eb8f4ab, v75
	;; [unrolled: 1-line block ×3, first 2 shown]
	v_add_f32_e32 v2, v28, v2
	v_add_f32_e32 v3, v29, v3
	v_fmamk_f32 v29, v36, 0xbf7ba420, v110
	v_fmamk_f32 v111, v37, 0x3f6eb680, v109
	v_mul_f32_e32 v28, 0x3f2c7751, v78
	v_add_f32_e32 v2, v30, v2
	v_add_f32_e32 v3, v31, v3
	;; [unrolled: 1-line block ×3, first 2 shown]
	v_mul_f32_e32 v29, 0xbe3c28d5, v66
	v_fmamk_f32 v31, v39, 0xbf59a7d5, v108
	v_add_f32_e32 v2, v24, v2
	v_add_f32_e32 v3, v25, v3
	;; [unrolled: 1-line block ×3, first 2 shown]
	v_mul_f32_e32 v24, 0xbf4c4adb, v86
	v_fmamk_f32 v30, v41, 0x3f3d2fb0, v28
	v_add_f32_e32 v2, v26, v2
	v_add_f32_e32 v3, v27, v3
	;; [unrolled: 1-line block ×3, first 2 shown]
	v_mul_f32_e32 v31, 0x3eb8f4ab, v67
	v_fma_f32 v26, 0xbf7ba420, v34, -v29
	v_add_f32_e32 v2, v20, v2
	v_add_f32_e32 v3, v21, v3
	;; [unrolled: 1-line block ×3, first 2 shown]
	v_fmamk_f32 v25, v44, 0xbf1a4643, v24
	v_add_f32_e32 v26, v26, v0
	v_add_f32_e32 v2, v22, v2
	;; [unrolled: 1-line block ×3, first 2 shown]
	v_fma_f32 v27, 0x3f6eb680, v35, -v31
	v_mul_f32_e32 v114, 0xbf06c442, v73
	v_mul_f32_e32 v20, 0x3f65296c, v89
	v_add_f32_e32 v2, v16, v2
	v_add_f32_e32 v3, v17, v3
	;; [unrolled: 1-line block ×3, first 2 shown]
	v_fma_f32 v23, 0xbf59a7d5, v38, -v114
	v_add_f32_e32 v21, v25, v21
	v_add_f32_e32 v2, v18, v2
	;; [unrolled: 1-line block ×3, first 2 shown]
	v_mul_f32_e32 v117, 0x3f2c7751, v76
	v_fmamk_f32 v26, v45, 0x3ee437d1, v20
	v_mul_f32_e32 v25, 0xbf763a35, v99
	v_add_f32_e32 v2, v8, v2
	v_add_f32_e32 v3, v9, v3
	v_mul_f32_e32 v118, 0xbf06c442, v74
	v_add_f32_e32 v17, v23, v22
	v_fma_f32 v22, 0x3f3d2fb0, v40, -v117
	v_add_f32_e32 v2, v10, v2
	v_mul_f32_e32 v119, 0xbf4c4adb, v79
	v_add_f32_e32 v16, v26, v21
	v_fmamk_f32 v21, v47, 0xbe8c1d8e, v25
	v_add_f32_e32 v3, v11, v3
	v_fmamk_f32 v10, v36, 0xbf59a7d5, v118
	v_add_f32_e32 v2, v12, v2
	v_mul_f32_e32 v122, 0x3f65296c, v75
	v_add_f32_e32 v17, v22, v17
	v_fma_f32 v22, 0xbf1a4643, v42, -v119
	v_mul_f32_e32 v111, 0x3f65296c, v80
	v_add_f32_e32 v18, v21, v16
	v_add_f32_e32 v3, v13, v3
	;; [unrolled: 1-line block ×4, first 2 shown]
	v_fmamk_f32 v2, v37, 0x3ee437d1, v122
	v_mul_f32_e32 v21, 0xbf7ee86f, v77
	v_mul_f32_e32 v123, 0xbf06c442, v66
	v_add_f32_e32 v16, v22, v17
	v_fma_f32 v8, 0x3ee437d1, v43, -v111
	v_mul_f32_e32 v112, 0xbf763a35, v88
	v_mul_f32_e32 v17, 0x3f7ee86f, v107
	v_add_f32_e32 v11, v15, v3
	v_add_f32_e32 v2, v2, v10
	v_fmamk_f32 v10, v39, 0x3dbcf732, v21
	v_mul_f32_e32 v15, 0x3f4c4adb, v78
	v_fma_f32 v13, 0xbf59a7d5, v34, -v123
	v_mul_f32_e32 v26, 0x3f65296c, v67
	v_add_f32_e32 v8, v8, v16
	v_fma_f32 v9, 0xbe8c1d8e, v46, -v112
	v_mul_f32_e32 v16, 0x3f7ee86f, v98
	v_fmamk_f32 v3, v49, 0x3dbcf732, v17
	v_add_f32_e32 v2, v10, v2
	v_fmamk_f32 v10, v41, 0xbf1a4643, v15
	v_mul_f32_e32 v22, 0xbeb8f4ab, v86
	v_add_f32_e32 v13, v13, v0
	v_fma_f32 v14, 0x3ee437d1, v35, -v26
	v_mul_f32_e32 v113, 0xbf7ee86f, v73
	v_add_f32_e32 v8, v9, v8
	v_fma_f32 v9, 0x3dbcf732, v48, -v16
	v_add_f32_e32 v3, v3, v18
	v_add_f32_e32 v10, v10, v2
	v_fmamk_f32 v18, v44, 0x3f6eb680, v22
	v_mul_f32_e32 v27, 0xbe3c28d5, v89
	v_add_f32_e32 v13, v14, v13
	v_fma_f32 v14, 0x3dbcf732, v38, -v113
	v_mul_f32_e32 v115, 0x3f4c4adb, v76
	v_add_f32_e32 v2, v9, v8
	v_add_f32_e32 v8, v18, v10
	v_fmamk_f32 v9, v45, 0xbf7ba420, v27
	v_add_f32_e32 v10, v14, v13
	v_fma_f32 v13, 0xbf1a4643, v40, -v115
	v_mul_f32_e32 v116, 0xbeb8f4ab, v79
	v_add_f32_e32 v5, v5, v11
	v_add_f32_e32 v4, v4, v12
	;; [unrolled: 1-line block ×4, first 2 shown]
	v_fma_f32 v10, 0x3f6eb680, v42, -v116
	v_mul_f32_e32 v23, 0xbe3c28d5, v80
	v_mul_f32_e32 v121, 0x3f2c7751, v99
	v_add_f32_e32 v5, v7, v5
	v_add_f32_e32 v4, v6, v4
	;; [unrolled: 1-line block ×3, first 2 shown]
	v_fma_f32 v7, 0xbf7ba420, v43, -v23
	v_mul_f32_e32 v18, 0x3f2c7751, v88
	v_fmamk_f32 v9, v47, 0x3f3d2fb0, v121
	v_mul_f32_e32 v30, 0xbf763a35, v107
	v_mul_f32_e32 v141, 0xbf4c4adb, v74
	v_add_f32_e32 v6, v7, v6
	v_fma_f32 v7, 0x3f3d2fb0, v46, -v18
	v_add_f32_e32 v8, v9, v8
	v_fmamk_f32 v9, v49, 0xbe8c1d8e, v30
	v_mul_f32_e32 v154, 0x3f763a35, v75
	v_mul_f32_e32 v130, 0xbf4c4adb, v66
	v_add_f32_e32 v6, v7, v6
	v_mul_f32_e32 v157, 0xbeb8f4ab, v77
	v_add_f32_e32 v7, v9, v8
	v_fmamk_f32 v8, v36, 0xbf1a4643, v141
	v_fmamk_f32 v11, v37, 0xbe8c1d8e, v154
	v_fma_f32 v10, 0xbf1a4643, v34, -v130
	v_mul_f32_e32 v128, 0x3f763a35, v67
	v_mul_f32_e32 v158, 0xbf06c442, v78
	v_add_f32_e32 v8, v8, v1
	v_mul_f32_e32 v124, 0xbeb8f4ab, v73
	v_add_f32_e32 v10, v10, v0
	v_fma_f32 v12, 0xbe8c1d8e, v35, -v128
	v_mul_f32_e32 v159, 0x3f7ee86f, v86
	v_add_f32_e32 v8, v11, v8
	v_fmamk_f32 v11, v39, 0x3f6eb680, v157
	v_mul_f32_e32 v125, 0xbf06c442, v76
	v_add_f32_e32 v10, v12, v10
	v_fma_f32 v12, 0x3f6eb680, v38, -v124
	v_mul_f32_e32 v149, 0xbf2c7751, v89
	v_add_f32_e32 v8, v11, v8
	v_fmamk_f32 v11, v41, 0xbf59a7d5, v158
	v_add_f32_e32 v5, v33, v5
	v_mul_f32_e32 v14, 0xbf763a35, v98
	v_add_f32_e32 v10, v12, v10
	v_fma_f32 v12, 0xbf59a7d5, v40, -v125
	v_add_f32_e32 v8, v11, v8
	v_fmamk_f32 v11, v44, 0x3dbcf732, v159
	v_mul_f32_e32 v33, 0x3f7ee86f, v79
	v_mul_f32_e32 v147, 0xbe3c28d5, v99
	v_fma_f32 v9, 0xbe8c1d8e, v48, -v14
	v_add_f32_e32 v10, v12, v10
	v_add_f32_e32 v8, v11, v8
	v_fmamk_f32 v11, v45, 0x3f3d2fb0, v149
	v_fma_f32 v12, 0x3dbcf732, v42, -v33
	v_mul_f32_e32 v120, 0xbf2c7751, v80
	v_mul_f32_e32 v136, 0x3f65296c, v107
	v_add_f32_e32 v4, v32, v4
	v_add_f32_e32 v8, v11, v8
	v_fmamk_f32 v11, v47, 0xbf7ba420, v147
	v_add_f32_e32 v10, v12, v10
	v_fma_f32 v12, 0x3f3d2fb0, v43, -v120
	v_mul_f32_e32 v32, 0xbe3c28d5, v88
	v_add_f32_e32 v6, v9, v6
	v_add_f32_e32 v8, v11, v8
	v_fmamk_f32 v9, v49, 0x3ee437d1, v136
	v_mul_f32_e32 v148, 0xbf763a35, v74
	v_add_f32_e32 v10, v12, v10
	v_fma_f32 v12, 0xbf7ba420, v46, -v32
	v_mul_f32_e32 v143, 0xbf763a35, v66
	v_add_f32_e32 v9, v9, v8
	v_fmamk_f32 v8, v36, 0xbe8c1d8e, v148
	v_mul_f32_e32 v161, 0x3f06c442, v75
	v_add_f32_e32 v10, v12, v10
	v_fma_f32 v12, 0xbe8c1d8e, v34, -v143
	v_mul_f32_e32 v144, 0x3f06c442, v67
	;; [unrolled: 6-line block ×5, first 2 shown]
	v_add_f32_e32 v8, v13, v8
	v_fmamk_f32 v13, v44, 0xbf7ba420, v152
	v_mul_f32_e32 v153, 0x3f7ee86f, v89
	v_mul_f32_e32 v19, 0x3f65296c, v98
	v_add_f32_e32 v12, v126, v12
	v_fma_f32 v126, 0xbf7ba420, v42, -v138
	v_mul_f32_e32 v139, 0x3f7ee86f, v80
	v_add_f32_e32 v8, v13, v8
	v_fmamk_f32 v13, v45, 0x3dbcf732, v153
	v_mul_f32_e32 v146, 0xbeb8f4ab, v99
	v_fma_f32 v11, 0x3ee437d1, v48, -v19
	v_add_f32_e32 v12, v126, v12
	v_fma_f32 v126, 0x3dbcf732, v43, -v139
	v_mul_f32_e32 v129, 0xbeb8f4ab, v88
	v_add_f32_e32 v13, v13, v8
	v_fmamk_f32 v127, v47, 0x3f6eb680, v146
	v_mul_f32_e32 v135, 0xbf4c4adb, v107
	v_add_f32_e32 v12, v126, v12
	v_fma_f32 v126, 0x3f6eb680, v46, -v129
	v_add_f32_e32 v8, v11, v10
	v_add_f32_e32 v10, v127, v13
	v_fmamk_f32 v11, v49, 0xbf1a4643, v135
	v_mul_f32_e32 v160, 0xbf7ee86f, v74
	v_mul_f32_e32 v155, 0xbf7ee86f, v66
	v_add_f32_e32 v12, v126, v12
	v_mul_f32_e32 v166, 0xbe3c28d5, v75
	v_add_f32_e32 v11, v11, v10
	v_fmamk_f32 v10, v36, 0x3dbcf732, v160
	v_fma_f32 v126, 0x3dbcf732, v34, -v155
	v_mul_f32_e32 v156, 0xbe3c28d5, v67
	v_fmamk_f32 v127, v37, 0xbf7ba420, v166
	v_mul_f32_e32 v167, 0x3f763a35, v77
	v_add_f32_e32 v10, v10, v1
	v_add_f32_e32 v126, v126, v0
	v_fma_f32 v131, 0xbf7ba420, v35, -v156
	v_mul_f32_e32 v142, 0x3f763a35, v73
	v_mul_f32_e32 v162, 0x3eb8f4ab, v78
	v_add_f32_e32 v10, v127, v10
	v_fmamk_f32 v127, v39, 0xbe8c1d8e, v167
	v_add_f32_e32 v126, v131, v126
	v_fma_f32 v131, 0xbe8c1d8e, v38, -v142
	v_mul_f32_e32 v134, 0x3eb8f4ab, v76
	v_mul_f32_e32 v163, 0xbf65296c, v86
	v_add_f32_e32 v10, v127, v10
	v_fmamk_f32 v127, v41, 0x3f6eb680, v162
	v_add_f32_e32 v126, v131, v126
	v_fma_f32 v132, 0x3f6eb680, v40, -v134
	v_mul_f32_e32 v131, 0xbf65296c, v79
	v_fmamk_f32 v140, v44, 0x3ee437d1, v163
	v_add_f32_e32 v10, v127, v10
	v_mul_f32_e32 v164, 0xbf06c442, v89
	v_add_f32_e32 v126, v132, v126
	v_fma_f32 v132, 0x3ee437d1, v42, -v131
	v_mul_f32_e32 v127, 0xbf06c442, v80
	v_mul_f32_e32 v133, 0xbf4c4adb, v98
	v_add_f32_e32 v10, v140, v10
	v_fmamk_f32 v165, v45, 0xbf59a7d5, v164
	v_mul_f32_e32 v140, 0x3f4c4adb, v99
	v_add_f32_e32 v168, v132, v126
	v_fma_f32 v169, 0xbf59a7d5, v43, -v127
	v_mul_f32_e32 v126, 0x3f4c4adb, v88
	v_fma_f32 v13, 0xbf1a4643, v48, -v133
	v_add_f32_e32 v10, v165, v10
	v_fmamk_f32 v170, v47, 0xbf1a4643, v140
	v_mul_f32_e32 v132, 0x3f2c7751, v107
	v_add_f32_e32 v168, v169, v168
	v_fma_f32 v169, 0xbf1a4643, v46, -v126
	v_mul_f32_e32 v165, 0xbf65296c, v74
	v_add_f32_e32 v74, v170, v10
	v_fmamk_f32 v170, v49, 0x3f3d2fb0, v132
	v_add_f32_e32 v10, v13, v12
	v_add_f32_e32 v12, v169, v168
	v_fmamk_f32 v169, v36, 0x3ee437d1, v165
	v_mul_f32_e32 v75, 0xbf4c4adb, v75
	v_add_f32_e32 v13, v170, v74
	v_mul_f32_e32 v168, 0xbf65296c, v66
	v_mul_f32_e32 v77, 0x3e3c28d5, v77
	v_add_f32_e32 v66, v169, v1
	v_fmamk_f32 v170, v37, 0xbf1a4643, v75
	v_mul_f32_e32 v169, 0xbf4c4adb, v67
	v_fma_f32 v172, 0x3ee437d1, v34, -v168
	v_fmamk_f32 v67, v39, 0xbf7ba420, v77
	v_mul_f32_e32 v78, 0x3f763a35, v78
	v_add_f32_e32 v66, v170, v66
	v_fma_f32 v173, 0xbf1a4643, v35, -v169
	v_add_f32_e32 v172, v172, v0
	v_mul_f32_e32 v170, 0x3e3c28d5, v73
	v_mul_f32_e32 v73, 0x3f2c7751, v86
	v_add_f32_e32 v66, v67, v66
	v_fmamk_f32 v67, v41, 0xbe8c1d8e, v78
	v_add_f32_e32 v172, v173, v172
	v_fma_f32 v173, 0xbf7ba420, v38, -v170
	v_mul_f32_e32 v86, 0x3f763a35, v76
	v_mul_f32_e32 v76, 0xbeb8f4ab, v89
	v_add_f32_e32 v66, v67, v66
	v_fmamk_f32 v67, v44, 0x3f3d2fb0, v73
	v_mul_f32_e32 v74, 0x3f2c7751, v98
	v_add_f32_e32 v89, v173, v172
	v_fma_f32 v172, 0xbe8c1d8e, v40, -v86
	v_fmamk_f32 v173, v45, 0x3f6eb680, v76
	v_add_f32_e32 v67, v67, v66
	v_fma_f32 v171, 0x3f3d2fb0, v48, -v74
	v_mul_f32_e32 v79, 0x3f2c7751, v79
	v_add_f32_e32 v89, v172, v89
	v_mul_f32_e32 v66, 0xbeb8f4ab, v80
	v_add_f32_e32 v172, v173, v67
	v_mul_f32_e32 v67, 0xbf7ee86f, v99
	v_mul_f32_e32 v99, 0x3f3d2fb0, v36
	v_add_f32_e32 v12, v171, v12
	v_fma_f32 v171, 0x3f3d2fb0, v42, -v79
	v_mul_f32_e32 v80, 0xbf7ee86f, v88
	v_mul_f32_e32 v88, 0x3dbcf732, v37
	v_add_f32_e32 v99, v104, v99
	v_fmamk_f32 v104, v47, 0x3dbcf732, v67
	v_add_f32_e32 v89, v171, v89
	v_fma_f32 v171, 0x3f6eb680, v43, -v66
	v_add_f32_e32 v106, v106, v88
	v_add_f32_e32 v99, v99, v1
	;; [unrolled: 1-line block ×3, first 2 shown]
	v_mul_f32_e32 v172, 0xbf1a4643, v39
	v_add_f32_e32 v89, v171, v89
	v_fma_f32 v171, 0x3dbcf732, v46, -v80
	v_add_f32_e32 v99, v106, v99
	v_mul_f32_e32 v106, 0x3f3d2fb0, v34
	v_mul_f32_e32 v88, 0xbf06c442, v107
	v_add_f32_e32 v100, v100, v172
	v_add_f32_e32 v171, v171, v89
	v_mul_f32_e32 v107, 0xbf7ba420, v41
	v_mul_f32_e32 v89, 0xbf06c442, v98
	;; [unrolled: 1-line block ×3, first 2 shown]
	v_sub_f32_e32 v90, v106, v90
	v_add_f32_e32 v99, v100, v99
	v_add_f32_e32 v100, v103, v107
	v_mul_f32_e32 v103, 0xbf59a7d5, v44
	v_sub_f32_e32 v93, v98, v93
	v_add_f32_e32 v90, v90, v0
	v_mul_f32_e32 v98, 0xbf1a4643, v38
	v_add_f32_e32 v99, v100, v99
	v_add_f32_e32 v100, v105, v103
	v_mul_f32_e32 v103, 0xbe8c1d8e, v45
	v_add_f32_e32 v90, v93, v90
	v_sub_f32_e32 v93, v98, v94
	v_mul_f32_e32 v98, 0xbf7ba420, v40
	v_add_f32_e32 v99, v100, v99
	v_fma_f32 v28, 0x3f3d2fb0, v41, -v28
	v_fma_f32 v24, 0xbf1a4643, v44, -v24
	v_add_f32_e32 v90, v93, v90
	v_sub_f32_e32 v93, v98, v95
	v_mul_f32_e32 v95, 0xbf59a7d5, v42
	v_add_f32_e32 v98, v101, v103
	v_mul_f32_e32 v101, 0x3ee437d1, v47
	v_fma_f32 v20, 0x3ee437d1, v45, -v20
	v_add_f32_e32 v90, v93, v90
	v_sub_f32_e32 v95, v95, v96
	v_add_f32_e32 v96, v98, v99
	v_mul_f32_e32 v98, 0xbe8c1d8e, v43
	v_add_f32_e32 v99, v102, v101
	v_fmac_f32_e32 v123, 0xbf59a7d5, v34
	v_add_f32_e32 v90, v95, v90
	v_mul_f32_e32 v95, 0x3f6eb680, v36
	v_sub_f32_e32 v91, v98, v91
	v_mul_f32_e32 v98, 0x3ee437d1, v46
	v_add_f32_e32 v96, v99, v96
	v_mul_f32_e32 v99, 0x3f3d2fb0, v37
	v_add_f32_e32 v53, v53, v95
	v_add_f32_e32 v90, v91, v90
	v_sub_f32_e32 v92, v98, v92
	v_mul_f32_e32 v95, 0x3ee437d1, v39
	v_add_f32_e32 v54, v54, v99
	v_add_f32_e32 v53, v53, v1
	v_fma_f32 v17, 0x3dbcf732, v49, -v17
	v_add_f32_e32 v90, v92, v90
	v_mul_f32_e32 v92, 0x3f6eb680, v34
	v_fma_f32 v21, 0x3dbcf732, v39, -v21
	v_add_f32_e32 v53, v54, v53
	v_add_f32_e32 v54, v59, v95
	v_mul_f32_e32 v59, 0x3dbcf732, v41
	v_mul_f32_e32 v95, 0x3f3d2fb0, v35
	v_sub_f32_e32 v50, v92, v50
	v_mul_f32_e32 v92, 0x3f6eb680, v48
	v_add_f32_e32 v53, v54, v53
	v_add_f32_e32 v54, v60, v59
	v_sub_f32_e32 v51, v95, v51
	v_add_f32_e32 v50, v50, v0
	v_mul_f32_e32 v59, 0x3ee437d1, v38
	v_sub_f32_e32 v60, v92, v87
	v_mul_f32_e32 v87, 0xbe8c1d8e, v44
	v_add_f32_e32 v53, v54, v53
	v_add_f32_e32 v50, v51, v50
	v_sub_f32_e32 v52, v59, v52
	v_mul_f32_e32 v54, 0x3dbcf732, v40
	v_add_f32_e32 v59, v61, v87
	v_mul_f32_e32 v61, 0xbf1a4643, v45
	v_fmac_f32_e32 v26, 0x3ee437d1, v35
	v_add_f32_e32 v52, v52, v50
	v_sub_f32_e32 v54, v54, v55
	v_add_f32_e32 v53, v59, v53
	v_mul_f32_e32 v55, 0xbe8c1d8e, v42
	v_add_f32_e32 v59, v62, v61
	v_fma_f32 v15, 0xbf1a4643, v41, -v15
	v_add_f32_e32 v52, v54, v52
	v_mul_f32_e32 v54, 0xbf59a7d5, v47
	v_sub_f32_e32 v55, v55, v57
	v_add_f32_e32 v53, v59, v53
	v_mul_f32_e32 v57, 0xbf1a4643, v43
	v_fma_f32 v59, 0xbf7ba420, v36, -v110
	v_add_f32_e32 v54, v63, v54
	v_add_f32_e32 v52, v55, v52
	v_fmac_f32_e32 v113, 0x3dbcf732, v38
	v_sub_f32_e32 v55, v57, v56
	v_add_f32_e32 v56, v59, v1
	v_fma_f32 v57, 0x3f6eb680, v37, -v109
	v_add_f32_e32 v53, v54, v53
	v_fmac_f32_e32 v115, 0xbf1a4643, v40
	v_add_f32_e32 v52, v55, v52
	v_fma_f32 v55, 0xbf59a7d5, v39, -v108
	v_add_f32_e32 v54, v57, v56
	v_fmac_f32_e32 v116, 0x3f6eb680, v42
	v_fmac_f32_e32 v23, 0xbf7ba420, v43
	v_fmac_f32_e32 v130, 0xbf1a4643, v34
	v_fmac_f32_e32 v18, 0x3f3d2fb0, v46
	v_add_f32_e32 v54, v55, v54
	v_fmac_f32_e32 v128, 0xbe8c1d8e, v35
	v_fmac_f32_e32 v124, 0x3f6eb680, v38
	v_fmac_f32_e32 v14, 0xbe8c1d8e, v48
	v_fmac_f32_e32 v125, 0xbf59a7d5, v40
	;; [unrolled: 5-line block ×4, first 2 shown]
	v_add_f32_e32 v20, v20, v24
	v_fma_f32 v24, 0xbe8c1d8e, v47, -v25
	v_fma_f32 v25, 0xbf59a7d5, v36, -v118
	v_fmac_f32_e32 v156, 0xbf7ba420, v35
	v_fmac_f32_e32 v29, 0xbf7ba420, v34
	;; [unrolled: 1-line block ×3, first 2 shown]
	v_add_f32_e32 v20, v24, v20
	v_add_f32_e32 v24, v25, v1
	v_fma_f32 v25, 0x3ee437d1, v37, -v122
	v_add_f32_e32 v29, v29, v0
	v_fmac_f32_e32 v168, 0x3ee437d1, v34
	v_add_f32_e32 v17, v17, v20
	v_fma_f32 v20, 0xbf1a4643, v36, -v141
	v_add_f32_e32 v24, v25, v24
	v_add_f32_e32 v25, v123, v0
	;; [unrolled: 1-line block ×3, first 2 shown]
	v_fmac_f32_e32 v114, 0xbf59a7d5, v38
	v_add_f32_e32 v20, v20, v1
	v_add_f32_e32 v21, v21, v24
	;; [unrolled: 1-line block ×3, first 2 shown]
	v_fma_f32 v25, 0xbe8c1d8e, v37, -v154
	v_fma_f32 v26, 0x3ee437d1, v44, -v163
	v_fmac_f32_e32 v169, 0xbf1a4643, v35
	v_add_f32_e32 v15, v15, v21
	v_fma_f32 v21, 0x3f6eb680, v44, -v22
	v_add_f32_e32 v22, v113, v24
	v_add_f32_e32 v20, v25, v20
	v_fma_f32 v24, 0x3f6eb680, v39, -v157
	v_fma_f32 v25, 0xbf7ba420, v44, -v152
	v_add_f32_e32 v15, v21, v15
	v_fma_f32 v21, 0xbf7ba420, v45, -v27
	v_add_f32_e32 v22, v115, v22
	v_add_f32_e32 v20, v24, v20
	v_fma_f32 v24, 0xbf59a7d5, v41, -v158
	v_add_f32_e32 v29, v114, v29
	v_add_f32_e32 v15, v21, v15
	;; [unrolled: 1-line block ×3, first 2 shown]
	v_fma_f32 v22, 0x3dbcf732, v44, -v159
	v_add_f32_e32 v20, v24, v20
	v_fma_f32 v24, 0x3f3d2fb0, v47, -v121
	v_fmac_f32_e32 v117, 0x3f3d2fb0, v40
	v_add_f32_e32 v21, v23, v21
	v_add_f32_e32 v23, v130, v0
	;; [unrolled: 1-line block ×3, first 2 shown]
	v_fma_f32 v22, 0x3f3d2fb0, v45, -v149
	v_add_f32_e32 v15, v24, v15
	v_add_f32_e32 v18, v18, v21
	v_add_f32_e32 v21, v128, v23
	v_fma_f32 v23, 0xbe8c1d8e, v36, -v148
	v_add_f32_e32 v20, v22, v20
	v_fma_f32 v22, 0xbf7ba420, v47, -v147
	v_add_f32_e32 v14, v14, v18
	v_add_f32_e32 v21, v124, v21
	v_fma_f32 v24, 0xbe8c1d8e, v49, -v30
	v_fmac_f32_e32 v142, 0xbe8c1d8e, v38
	v_add_f32_e32 v18, v22, v20
	v_add_f32_e32 v20, v23, v1
	v_fma_f32 v22, 0xbf59a7d5, v37, -v161
	v_add_f32_e32 v21, v125, v21
	v_add_f32_e32 v15, v24, v15
	v_add_f32_e32 v24, v143, v0
	v_fma_f32 v23, 0x3ee437d1, v49, -v136
	v_add_f32_e32 v20, v22, v20
	v_fma_f32 v22, 0x3f3d2fb0, v39, -v150
	v_add_f32_e32 v21, v33, v21
	v_add_f32_e32 v24, v144, v24
	v_fmac_f32_e32 v170, 0xbf7ba420, v38
	v_mul_f32_e32 v31, 0xbf7ba420, v49
	v_add_f32_e32 v20, v22, v20
	v_fma_f32 v22, 0x3ee437d1, v41, -v151
	v_add_f32_e32 v21, v120, v21
	v_mul_f32_e32 v54, 0xbf7ba420, v48
	v_add_f32_e32 v29, v117, v29
	v_fmac_f32_e32 v119, 0xbf1a4643, v42
	v_add_f32_e32 v22, v22, v20
	v_add_f32_e32 v20, v23, v18
	;; [unrolled: 1-line block ×4, first 2 shown]
	v_fma_f32 v23, 0x3dbcf732, v45, -v153
	v_add_f32_e32 v22, v25, v22
	v_fma_f32 v24, 0x3dbcf732, v36, -v160
	v_fma_f32 v25, 0xbf7ba420, v37, -v166
	v_add_f32_e32 v19, v19, v18
	v_fmac_f32_e32 v137, 0x3ee437d1, v40
	v_add_f32_e32 v22, v23, v22
	v_fma_f32 v23, 0x3f6eb680, v47, -v146
	v_add_f32_e32 v24, v24, v1
	v_fmac_f32_e32 v134, 0x3f6eb680, v40
	v_fmac_f32_e32 v86, 0xbe8c1d8e, v40
	v_mul_f32_e32 v56, 0xbf59a7d5, v46
	v_add_f32_e32 v18, v23, v22
	v_add_f32_e32 v22, v25, v24
	v_fma_f32 v23, 0xbe8c1d8e, v39, -v167
	v_fma_f32 v24, 0xbf1a4643, v49, -v135
	v_add_f32_e32 v25, v155, v0
	v_add_f32_e32 v0, v168, v0
	;; [unrolled: 1-line block ×4, first 2 shown]
	v_fma_f32 v23, 0x3f6eb680, v41, -v162
	v_sub_f32_e32 v28, v54, v64
	v_add_f32_e32 v0, v169, v0
	v_add_f32_e32 v54, v119, v29
	v_fmac_f32_e32 v111, 0x3ee437d1, v43
	v_add_f32_e32 v23, v23, v22
	v_add_f32_e32 v22, v24, v18
	;; [unrolled: 1-line block ×3, first 2 shown]
	v_fma_f32 v24, 0xbf59a7d5, v45, -v164
	v_fma_f32 v25, 0x3ee437d1, v36, -v165
	v_add_f32_e32 v23, v26, v23
	v_add_f32_e32 v0, v170, v0
	;; [unrolled: 1-line block ×6, first 2 shown]
	v_fma_f32 v24, 0xbf1a4643, v37, -v75
	v_fmac_f32_e32 v138, 0xbf7ba420, v42
	v_add_f32_e32 v18, v134, v18
	v_fmac_f32_e32 v131, 0x3ee437d1, v42
	v_add_f32_e32 v0, v86, v0
	v_add_f32_e32 v1, v24, v1
	v_fma_f32 v24, 0xbf7ba420, v39, -v77
	v_fmac_f32_e32 v79, 0x3f3d2fb0, v42
	v_sub_f32_e32 v55, v56, v58
	v_add_f32_e32 v29, v31, v53
	v_add_f32_e32 v31, v111, v54
	;; [unrolled: 1-line block ×3, first 2 shown]
	v_fma_f32 v24, 0xbe8c1d8e, v41, -v78
	v_fmac_f32_e32 v112, 0xbe8c1d8e, v46
	v_add_f32_e32 v21, v138, v21
	v_fmac_f32_e32 v139, 0x3dbcf732, v43
	v_add_f32_e32 v18, v131, v18
	v_add_f32_e32 v1, v24, v1
	v_fma_f32 v24, 0x3f3d2fb0, v44, -v73
	v_fmac_f32_e32 v127, 0xbf59a7d5, v43
	v_add_f32_e32 v0, v79, v0
	v_fmac_f32_e32 v66, 0x3f6eb680, v43
	v_mul_f32_e32 v91, 0x3f6eb680, v49
	v_add_f32_e32 v1, v24, v1
	v_fma_f32 v24, 0x3f6eb680, v45, -v76
	v_add_f32_e32 v52, v55, v52
	v_add_f32_e32 v31, v112, v31
	v_fmac_f32_e32 v16, 0x3dbcf732, v48
	v_add_f32_e32 v21, v139, v21
	v_add_f32_e32 v1, v24, v1
	v_mul_lo_u16 v24, v84, 17
	v_fmac_f32_e32 v129, 0x3f6eb680, v46
	v_fma_f32 v25, 0xbf1a4643, v47, -v140
	v_add_f32_e32 v18, v127, v18
	v_fmac_f32_e32 v126, 0xbf1a4643, v46
	v_fma_f32 v26, 0x3dbcf732, v47, -v67
	v_add_f32_e32 v0, v66, v0
	v_fmac_f32_e32 v80, 0x3dbcf732, v46
	v_and_b32_e32 v24, 0xffff, v24
	v_fmamk_f32 v106, v49, 0xbf59a7d5, v88
	v_fma_f32 v100, 0xbf59a7d5, v48, -v89
	v_add_f32_e32 v91, v97, v91
	v_add_f32_e32 v28, v28, v52
	;; [unrolled: 1-line block ×4, first 2 shown]
	v_fmac_f32_e32 v133, 0xbf1a4643, v48
	v_add_f32_e32 v23, v25, v23
	v_fma_f32 v25, 0x3f3d2fb0, v49, -v132
	v_add_f32_e32 v18, v126, v18
	v_fmac_f32_e32 v74, 0x3f3d2fb0, v48
	v_add_f32_e32 v26, v26, v1
	v_fma_f32 v27, 0xbf59a7d5, v49, -v88
	v_add_f32_e32 v30, v80, v0
	v_fmac_f32_e32 v89, 0xbf59a7d5, v48
	v_add_lshl_u32 v31, v83, v24, 3
	v_add_f32_e32 v94, v106, v104
	v_add_f32_e32 v93, v100, v171
	;; [unrolled: 1-line block ×9, first 2 shown]
	ds_write2_b64 v31, v[4:5], v[28:29] offset1:1
	ds_write2_b64 v31, v[50:51], v[93:94] offset0:2 offset1:3
	ds_write2_b64 v31, v[12:13], v[10:11] offset0:4 offset1:5
	ds_write2_b64 v31, v[8:9], v[6:7] offset0:6 offset1:7
	ds_write2_b64 v31, v[2:3], v[16:17] offset0:8 offset1:9
	ds_write2_b64 v31, v[14:15], v[19:20] offset0:10 offset1:11
	ds_write2_b64 v31, v[21:22], v[0:1] offset0:12 offset1:13
	ds_write2_b64 v31, v[23:24], v[71:72] offset0:14 offset1:15
	ds_write_b64 v31, v[69:70] offset:128
.LBB0_7:
	s_or_b32 exec_lo, exec_lo, s4
	v_add_co_u32 v24, null, v84, 34
	v_lshlrev_b32_e32 v35, 5, v84
	s_load_dwordx4 s[4:7], s[0:1], 0x0
	s_waitcnt lgkmcnt(0)
	v_and_b32_e32 v4, 0xff, v24
	s_barrier
	buffer_gl0_inv
	s_clause 0x1
	global_load_dwordx4 v[8:11], v35, s[2:3]
	global_load_dwordx4 v[0:3], v35, s[2:3] offset:16
	v_add_lshl_u32 v86, v83, v84, 3
	v_mul_lo_u16 v4, 0xf1, v4
	v_lshlrev_b32_e32 v36, 4, v84
	v_add_co_u32 v35, s0, s2, v35
	v_add_co_ci_u32_e64 v50, null, s3, 0, s0
	v_lshrrev_b16 v4, 12, v4
	v_add_nc_u32_e32 v51, 0x110, v36
	v_mul_lo_u16 v4, v4, 17
	v_sub_nc_u16 v49, v24, v4
	v_lshlrev_b16 v4, 2, v49
	v_and_b32_e32 v52, 0xff, v49
	v_sub_co_u32 v49, s0, v35, v36
	v_subrev_co_ci_u32_e64 v50, s0, 0, v50, s0
	v_and_b32_e32 v4, 0xfc, v4
	v_add_lshl_u32 v87, v83, v52, 3
	v_lshlrev_b32_e32 v4, 3, v4
	s_clause 0x1
	global_load_dwordx4 v[12:15], v4, s[2:3]
	global_load_dwordx4 v[4:7], v4, s[2:3] offset:16
	ds_read2_b64 v[20:23], v86 offset1:17
	ds_read2_b64 v[16:19], v86 offset0:34 offset1:51
	ds_read2_b64 v[25:28], v86 offset0:102 offset1:119
	ds_read2_b64 v[29:32], v86 offset0:136 offset1:153
	ds_read2_b64 v[37:40], v86 offset0:204 offset1:221
	ds_read2_b64 v[41:44], v86 offset0:68 offset1:85
	ds_read2_b64 v[45:48], v86 offset0:170 offset1:187
	ds_read_b64 v[33:34], v86 offset:1904
	s_waitcnt vmcnt(0) lgkmcnt(0)
	s_barrier
	buffer_gl0_inv
	v_mul_f32_e32 v35, v19, v9
	v_mul_f32_e32 v52, v18, v9
	;; [unrolled: 1-line block ×10, first 2 shown]
	v_fma_f32 v18, v18, v8, -v35
	v_fmac_f32_e32 v52, v19, v8
	v_fma_f32 v19, v25, v10, -v53
	v_fmac_f32_e32 v54, v26, v10
	;; [unrolled: 2-line block ×3, first 2 shown]
	v_mul_f32_e32 v63, v46, v1
	v_mul_f32_e32 v65, v40, v3
	v_fma_f32 v35, v37, v2, -v57
	v_fmac_f32_e32 v58, v38, v2
	v_mul_f32_e32 v59, v42, v9
	v_mul_f32_e32 v60, v41, v9
	;; [unrolled: 1-line block ×3, first 2 shown]
	v_fma_f32 v26, v27, v10, -v61
	v_fmac_f32_e32 v62, v28, v10
	v_add_f32_e32 v27, v20, v18
	v_add_f32_e32 v28, v19, v31
	;; [unrolled: 1-line block ×4, first 2 shown]
	v_mul_f32_e32 v64, v45, v1
	v_fma_f32 v37, v45, v0, -v63
	v_fma_f32 v45, v39, v2, -v65
	v_add_f32_e32 v39, v18, v35
	v_add_f32_e32 v65, v52, v58
	v_fma_f32 v25, v41, v8, -v59
	v_fmac_f32_e32 v60, v42, v8
	v_fmac_f32_e32 v66, v40, v2
	v_sub_f32_e32 v42, v52, v58
	v_sub_f32_e32 v32, v18, v19
	;; [unrolled: 1-line block ×6, first 2 shown]
	v_add_f32_e32 v27, v27, v19
	v_fma_f32 v18, -0.5, v28, v20
	v_add_f32_e32 v28, v53, v54
	v_fma_f32 v19, -0.5, v55, v21
	v_fmac_f32_e32 v64, v46, v0
	v_sub_f32_e32 v46, v54, v56
	v_sub_f32_e32 v38, v35, v31
	v_fma_f32 v20, -0.5, v39, v20
	v_fma_f32 v21, -0.5, v65, v21
	v_add_f32_e32 v73, v22, v25
	v_add_f32_e32 v89, v23, v60
	v_sub_f32_e32 v61, v52, v54
	v_sub_f32_e32 v63, v58, v56
	;; [unrolled: 1-line block ×3, first 2 shown]
	v_add_f32_e32 v98, v40, v41
	v_add_f32_e32 v41, v27, v31
	v_fmamk_f32 v27, v42, 0x3f737871, v18
	v_add_f32_e32 v56, v28, v56
	v_fmamk_f32 v28, v57, 0xbf737871, v19
	v_sub_f32_e32 v52, v54, v52
	v_add_f32_e32 v97, v32, v38
	v_fmamk_f32 v31, v46, 0xbf737871, v20
	v_fmac_f32_e32 v20, 0x3f737871, v46
	v_fmamk_f32 v32, v59, 0x3f737871, v21
	v_fmac_f32_e32 v21, 0xbf737871, v59
	v_add_f32_e32 v38, v73, v26
	v_add_f32_e32 v40, v89, v62
	v_fmac_f32_e32 v18, 0xbf737871, v42
	v_fmac_f32_e32 v19, 0x3f737871, v57
	v_add_f32_e32 v53, v61, v63
	v_fmac_f32_e32 v27, 0x3f167918, v46
	v_fmac_f32_e32 v28, 0xbf167918, v59
	v_add_f32_e32 v74, v26, v37
	v_add_f32_e32 v52, v52, v67
	v_fmac_f32_e32 v31, 0x3f167918, v42
	v_fmac_f32_e32 v20, 0xbf167918, v42
	v_fmac_f32_e32 v32, 0xbf167918, v57
	v_fmac_f32_e32 v21, 0x3f167918, v57
	v_sub_f32_e32 v75, v60, v66
	v_sub_f32_e32 v76, v62, v64
	v_add_f32_e32 v90, v62, v64
	v_sub_f32_e32 v93, v60, v62
	v_add_f32_e32 v95, v60, v66
	;; [unrolled: 2-line block ×3, first 2 shown]
	v_add_f32_e32 v63, v40, v64
	v_fmac_f32_e32 v18, 0xbf167918, v46
	v_fmac_f32_e32 v19, 0x3f167918, v59
	v_add_f32_e32 v79, v25, v45
	v_add_f32_e32 v41, v41, v35
	;; [unrolled: 1-line block ×3, first 2 shown]
	v_fmac_f32_e32 v27, 0x3e9e377a, v97
	v_fmac_f32_e32 v28, 0x3e9e377a, v53
	v_sub_f32_e32 v77, v25, v26
	v_sub_f32_e32 v80, v26, v25
	v_sub_f32_e32 v91, v25, v45
	v_fma_f32 v25, -0.5, v74, v22
	v_fmac_f32_e32 v31, 0x3e9e377a, v98
	v_fmac_f32_e32 v20, 0x3e9e377a, v98
	;; [unrolled: 1-line block ×4, first 2 shown]
	v_sub_f32_e32 v78, v45, v37
	v_sub_f32_e32 v88, v37, v45
	v_add_f32_e32 v45, v62, v45
	v_add_f32_e32 v46, v63, v66
	v_fmac_f32_e32 v18, 0x3e9e377a, v97
	v_fmac_f32_e32 v19, 0x3e9e377a, v53
	v_fma_f32 v22, -0.5, v79, v22
	ds_write2_b64 v86, v[41:42], v[27:28] offset1:17
	ds_write2_b64 v86, v[31:32], v[20:21] offset0:34 offset1:51
	ds_write2_b64 v86, v[18:19], v[45:46] offset0:68 offset1:85
	v_mul_f32_e32 v18, v44, v13
	v_mul_f32_e32 v19, v43, v13
	;; [unrolled: 1-line block ×6, first 2 shown]
	v_sub_f32_e32 v92, v26, v37
	v_fmamk_f32 v37, v75, 0x3f737871, v25
	v_fmac_f32_e32 v25, 0xbf737871, v75
	v_mul_f32_e32 v31, v34, v7
	v_mul_f32_e32 v32, v33, v7
	v_fmamk_f32 v39, v76, 0xbf737871, v22
	v_fmac_f32_e32 v22, 0x3f737871, v76
	v_fma_f32 v18, v43, v12, -v18
	v_fmac_f32_e32 v19, v44, v12
	v_fma_f32 v20, v29, v14, -v20
	;; [unrolled: 2-line block ×3, first 2 shown]
	v_fmac_f32_e32 v28, v48, v4
	v_add_f32_e32 v54, v77, v78
	v_fmac_f32_e32 v37, 0x3f167918, v76
	v_fmac_f32_e32 v25, 0xbf167918, v76
	;; [unrolled: 1-line block ×3, first 2 shown]
	v_fma_f32 v29, v33, v6, -v31
	v_add_f32_e32 v55, v80, v88
	v_fmac_f32_e32 v39, 0x3f167918, v75
	v_fmac_f32_e32 v22, 0xbf167918, v75
	v_add_f32_e32 v30, v16, v18
	v_add_f32_e32 v31, v20, v27
	;; [unrolled: 1-line block ×4, first 2 shown]
	v_fmac_f32_e32 v37, 0x3e9e377a, v54
	v_fmac_f32_e32 v25, 0x3e9e377a, v54
	v_add_f32_e32 v42, v18, v29
	v_add_f32_e32 v54, v19, v32
	v_fma_f32 v26, -0.5, v90, v23
	v_fmac_f32_e32 v23, -0.5, v95
	v_fmac_f32_e32 v39, 0x3e9e377a, v55
	v_fmac_f32_e32 v22, 0x3e9e377a, v55
	v_sub_f32_e32 v33, v19, v32
	v_sub_f32_e32 v34, v21, v28
	;; [unrolled: 1-line block ×10, first 2 shown]
	v_add_f32_e32 v20, v30, v20
	v_fma_f32 v18, -0.5, v31, v16
	v_add_f32_e32 v21, v45, v21
	v_fma_f32 v19, -0.5, v46, v17
	v_fma_f32 v16, -0.5, v42, v16
	v_fmac_f32_e32 v17, -0.5, v54
	v_sub_f32_e32 v94, v66, v64
	v_sub_f32_e32 v96, v64, v66
	v_fmamk_f32 v38, v91, 0xbf737871, v26
	v_fmamk_f32 v40, v92, 0x3f737871, v23
	v_fmac_f32_e32 v26, 0x3f737871, v91
	v_fmac_f32_e32 v23, 0xbf737871, v92
	v_sub_f32_e32 v53, v32, v28
	v_add_f32_e32 v31, v35, v41
	v_add_f32_e32 v35, v43, v44
	;; [unrolled: 1-line block ×3, first 2 shown]
	v_fmamk_f32 v20, v33, 0x3f737871, v18
	v_add_f32_e32 v43, v21, v28
	v_fmamk_f32 v21, v47, 0xbf737871, v19
	v_sub_f32_e32 v56, v28, v32
	v_fmamk_f32 v27, v34, 0xbf737871, v16
	v_fmac_f32_e32 v16, 0x3f737871, v34
	v_fmamk_f32 v28, v48, 0x3f737871, v17
	v_fmac_f32_e32 v17, 0xbf737871, v48
	v_fmac_f32_e32 v18, 0xbf737871, v33
	;; [unrolled: 1-line block ×3, first 2 shown]
	v_add_f32_e32 v61, v93, v94
	v_add_f32_e32 v60, v60, v96
	v_fmac_f32_e32 v38, 0xbf167918, v92
	v_fmac_f32_e32 v40, 0xbf167918, v91
	;; [unrolled: 1-line block ×4, first 2 shown]
	v_add_f32_e32 v41, v52, v53
	v_fmac_f32_e32 v20, 0x3f167918, v34
	v_fmac_f32_e32 v21, 0xbf167918, v48
	v_add_f32_e32 v42, v55, v56
	v_fmac_f32_e32 v27, 0x3f167918, v33
	v_fmac_f32_e32 v16, 0xbf167918, v33
	;; [unrolled: 1-line block ×10, first 2 shown]
	v_add_f32_e32 v29, v30, v29
	v_add_f32_e32 v30, v43, v32
	v_fmac_f32_e32 v20, 0x3e9e377a, v31
	v_fmac_f32_e32 v21, 0x3e9e377a, v41
	;; [unrolled: 1-line block ×8, first 2 shown]
	ds_write2_b64 v86, v[37:38], v[39:40] offset0:102 offset1:119
	ds_write2_b64 v86, v[22:23], v[25:26] offset0:136 offset1:153
	;; [unrolled: 1-line block ×4, first 2 shown]
	ds_write_b64 v87, v[18:19] offset:1904
	v_lshlrev_b32_e32 v16, 4, v24
	v_add_nc_u32_e32 v17, 0x330, v36
	s_waitcnt lgkmcnt(0)
	s_barrier
	buffer_gl0_inv
	s_clause 0x1
	global_load_dwordx4 v[28:31], v51, s[2:3] offset:544
	global_load_dwordx4 v[24:27], v16, s[2:3] offset:544
	v_add_nc_u32_e32 v16, 0x440, v36
	s_clause 0x2
	global_load_dwordx4 v[32:35], v[49:50], off offset:544
	global_load_dwordx4 v[20:23], v17, s[2:3] offset:544
	global_load_dwordx4 v[16:19], v16, s[2:3] offset:544
	ds_read2_b64 v[40:43], v86 offset0:68 offset1:85
	ds_read2_b64 v[36:39], v86 offset0:170 offset1:187
	;; [unrolled: 1-line block ×5, first 2 shown]
	ds_read2_b64 v[52:55], v86 offset1:17
	ds_read_b64 v[64:65], v86 offset:1904
	ds_read2_b64 v[48:51], v86 offset0:34 offset1:51
	v_lshl_add_u32 v88, v84, 3, v85
	v_add_nc_u32_e32 v73, v82, v85
	s_waitcnt vmcnt(4) lgkmcnt(5)
	v_mul_f32_e32 v76, v45, v29
	v_mul_f32_e32 v77, v44, v29
	v_mul_f32_e32 v78, v39, v31
	s_waitcnt vmcnt(2)
	v_mul_f32_e32 v66, v43, v33
	v_mul_f32_e32 v67, v42, v33
	;; [unrolled: 1-line block ×7, first 2 shown]
	s_waitcnt lgkmcnt(4)
	v_mul_f32_e32 v90, v57, v27
	v_mul_f32_e32 v91, v56, v27
	s_waitcnt vmcnt(1) lgkmcnt(3)
	v_mul_f32_e32 v92, v61, v21
	v_mul_f32_e32 v93, v60, v21
	;; [unrolled: 1-line block ×4, first 2 shown]
	s_waitcnt vmcnt(0)
	v_mul_f32_e32 v96, v63, v17
	v_mul_f32_e32 v97, v62, v17
	s_waitcnt lgkmcnt(1)
	v_mul_f32_e32 v98, v65, v19
	v_mul_f32_e32 v99, v64, v19
	v_fma_f32 v42, v42, v32, -v66
	v_fmac_f32_e32 v67, v43, v32
	v_fma_f32 v36, v36, v34, -v74
	v_fmac_f32_e32 v75, v37, v34
	;; [unrolled: 2-line block ×10, first 2 shown]
	v_add_f32_e32 v56, v52, v42
	v_add_f32_e32 v57, v42, v36
	v_sub_f32_e32 v66, v67, v75
	v_add_f32_e32 v58, v53, v67
	v_add_f32_e32 v59, v67, v75
	;; [unrolled: 1-line block ×3, first 2 shown]
	v_sub_f32_e32 v67, v77, v79
	v_add_f32_e32 v64, v55, v77
	v_add_f32_e32 v65, v77, v79
	;; [unrolled: 1-line block ×3, first 2 shown]
	v_sub_f32_e32 v78, v89, v91
	s_waitcnt lgkmcnt(0)
	v_add_f32_e32 v80, v49, v89
	v_add_f32_e32 v89, v89, v91
	;; [unrolled: 1-line block ×3, first 2 shown]
	v_sub_f32_e32 v94, v93, v95
	v_add_f32_e32 v96, v51, v93
	v_add_f32_e32 v93, v93, v95
	;; [unrolled: 1-line block ×3, first 2 shown]
	v_sub_f32_e32 v101, v97, v99
	v_add_f32_e32 v102, v41, v97
	v_add_f32_e32 v97, v97, v99
	v_sub_f32_e32 v42, v42, v36
	v_add_f32_e32 v62, v54, v37
	v_sub_f32_e32 v74, v37, v38
	;; [unrolled: 2-line block ×5, first 2 shown]
	v_add_f32_e32 v36, v56, v36
	v_fma_f32 v60, -0.5, v57, v52
	v_fma_f32 v61, -0.5, v59, v53
	;; [unrolled: 1-line block ×3, first 2 shown]
	v_fmac_f32_e32 v55, -0.5, v65
	v_fma_f32 v56, -0.5, v77, v48
	v_fma_f32 v57, -0.5, v89, v49
	;; [unrolled: 1-line block ×3, first 2 shown]
	v_fmac_f32_e32 v51, -0.5, v93
	v_fma_f32 v40, -0.5, v100, v40
	v_fmac_f32_e32 v41, -0.5, v97
	v_add_f32_e32 v37, v58, v75
	v_add_f32_e32 v62, v62, v38
	;; [unrolled: 1-line block ×9, first 2 shown]
	v_fmamk_f32 v38, v66, 0x3f5db3d7, v60
	v_fmac_f32_e32 v60, 0xbf5db3d7, v66
	v_fmamk_f32 v39, v42, 0xbf5db3d7, v61
	v_fmac_f32_e32 v61, 0x3f5db3d7, v42
	;; [unrolled: 2-line block ×10, first 2 shown]
	ds_write2_b64 v88, v[36:37], v[62:63] offset1:17
	ds_write_b64 v88, v[64:65] offset:272
	ds_write2_b64 v88, v[38:39], v[52:53] offset0:85 offset1:102
	ds_write2_b64 v88, v[60:61], v[54:55] offset0:170 offset1:187
	ds_write_b64 v73, v[66:67] offset:952
	ds_write_b64 v73, v[56:57] offset:1632
	ds_write_b64 v88, v[58:59] offset:408
	ds_write_b64 v73, v[48:49] offset:1088
	ds_write_b64 v73, v[50:51] offset:1768
	ds_write_b64 v88, v[44:45] offset:544
	ds_write_b64 v73, v[46:47] offset:1224
	ds_write_b64 v73, v[40:41] offset:1904
	s_waitcnt lgkmcnt(0)
	s_barrier
	buffer_gl0_inv
	s_and_saveexec_b32 s2, vcc_lo
	s_cbranch_execz .LBB0_9
; %bb.8:
	s_add_u32 s0, s12, 0x7f8
	s_addc_u32 s1, s13, 0
	s_clause 0x10
	global_load_dwordx2 v[42:43], v82, s[12:13] offset:2040
	global_load_dwordx2 v[78:79], v82, s[0:1] offset:120
	;; [unrolled: 1-line block ×17, first 2 shown]
	ds_read2_b64 v[74:77], v88 offset1:15
	ds_read2_b64 v[89:92], v88 offset0:30 offset1:45
	ds_read2_b64 v[93:96], v88 offset0:60 offset1:75
	;; [unrolled: 1-line block ×7, first 2 shown]
	ds_read_b64 v[147:148], v88 offset:1920
	s_waitcnt vmcnt(16) lgkmcnt(8)
	v_mul_f32_e32 v149, v75, v43
	v_mul_f32_e32 v80, v74, v43
	s_waitcnt vmcnt(15)
	v_mul_f32_e32 v151, v77, v79
	v_mul_f32_e32 v43, v76, v79
	s_waitcnt vmcnt(14) lgkmcnt(7)
	v_mul_f32_e32 v152, v90, v118
	v_mul_f32_e32 v150, v89, v118
	s_waitcnt vmcnt(13)
	v_mul_f32_e32 v153, v92, v120
	v_mul_f32_e32 v118, v91, v120
	;; [unrolled: 6-line block ×8, first 2 shown]
	s_waitcnt vmcnt(0) lgkmcnt(0)
	v_mul_f32_e32 v166, v148, v146
	v_mul_f32_e32 v144, v147, v146
	v_fma_f32 v79, v74, v42, -v149
	v_fmac_f32_e32 v80, v75, v42
	v_fma_f32 v42, v76, v78, -v151
	v_fmac_f32_e32 v43, v77, v78
	;; [unrolled: 2-line block ×17, first 2 shown]
	ds_write2_b64 v88, v[79:80], v[42:43] offset1:15
	ds_write2_b64 v88, v[149:150], v[117:118] offset0:30 offset1:45
	ds_write2_b64 v88, v[119:120], v[121:122] offset0:60 offset1:75
	;; [unrolled: 1-line block ×7, first 2 shown]
	ds_write_b64 v88, v[143:144] offset:1920
.LBB0_9:
	s_or_b32 exec_lo, exec_lo, s2
	s_waitcnt lgkmcnt(0)
	s_barrier
	buffer_gl0_inv
	s_and_saveexec_b32 s0, vcc_lo
	s_cbranch_execz .LBB0_11
; %bb.10:
	ds_read2_b64 v[36:39], v88 offset1:15
	ds_read2_b64 v[60:63], v88 offset0:30 offset1:45
	ds_read2_b64 v[40:43], v88 offset0:210 offset1:225
	;; [unrolled: 1-line block ×7, first 2 shown]
	ds_read_b64 v[69:70], v88 offset:1920
	s_waitcnt lgkmcnt(6)
	v_mov_b32_e32 v71, v42
	v_mov_b32_e32 v72, v43
.LBB0_11:
	s_or_b32 exec_lo, exec_lo, s0
	v_add_nc_u32_e32 v91, 0x110, v73
	v_add_nc_u32_e32 v90, 0x198, v73
	;; [unrolled: 1-line block ×3, first 2 shown]
	s_waitcnt lgkmcnt(0)
	s_barrier
	buffer_gl0_inv
	s_and_saveexec_b32 s0, vcc_lo
	s_cbranch_execz .LBB0_13
; %bb.12:
	v_add_f32_e32 v171, v70, v39
	v_sub_f32_e32 v97, v38, v69
	v_add_f32_e32 v165, v72, v61
	v_sub_f32_e32 v93, v60, v71
	v_add_f32_e32 v150, v41, v63
	v_mul_f32_e32 v113, 0xbf7ba420, v171
	v_sub_f32_e32 v94, v62, v40
	v_mul_f32_e32 v109, 0x3f6eb680, v165
	v_add_f32_e32 v147, v47, v53
	v_mul_f32_e32 v110, 0xbf59a7d5, v150
	v_fmamk_f32 v42, v97, 0x3e3c28d5, v113
	v_sub_f32_e32 v92, v52, v46
	v_fmamk_f32 v43, v93, 0xbeb8f4ab, v109
	v_add_f32_e32 v143, v45, v55
	v_mul_f32_e32 v108, 0x3f3d2fb0, v147
	v_add_f32_e32 v42, v37, v42
	v_fmamk_f32 v73, v94, 0x3f06c442, v110
	v_sub_f32_e32 v194, v39, v70
	v_sub_f32_e32 v95, v54, v44
	v_add_f32_e32 v140, v51, v65
	v_add_f32_e32 v42, v43, v42
	v_add_f32_e32 v98, v69, v38
	v_mul_f32_e32 v111, 0xbf1a4643, v143
	v_fmamk_f32 v43, v92, 0xbf2c7751, v108
	v_mul_f32_e32 v118, 0xbe3c28d5, v194
	v_add_f32_e32 v42, v73, v42
	v_sub_f32_e32 v195, v61, v72
	v_sub_f32_e32 v96, v64, v50
	v_add_f32_e32 v100, v71, v60
	v_fmamk_f32 v73, v95, 0x3f4c4adb, v111
	v_add_f32_e32 v42, v43, v42
	v_mul_f32_e32 v112, 0x3ee437d1, v140
	v_fmamk_f32 v43, v98, 0xbf7ba420, v118
	v_mul_f32_e32 v119, 0x3eb8f4ab, v195
	v_sub_f32_e32 v192, v63, v41
	v_add_f32_e32 v42, v73, v42
	v_fmamk_f32 v73, v96, 0xbf65296c, v112
	v_add_f32_e32 v43, v36, v43
	v_fmamk_f32 v74, v100, 0x3f6eb680, v119
	v_add_f32_e32 v101, v40, v62
	v_mul_f32_e32 v121, 0xbf06c442, v192
	v_sub_f32_e32 v196, v53, v47
	v_add_f32_e32 v42, v73, v42
	v_add_f32_e32 v43, v74, v43
	;; [unrolled: 1-line block ×3, first 2 shown]
	v_fmamk_f32 v73, v101, 0xbf59a7d5, v121
	v_mul_f32_e32 v116, 0x3f2c7751, v196
	v_sub_f32_e32 v197, v55, v45
	v_add_f32_e32 v182, v49, v67
	v_add_f32_e32 v104, v44, v54
	;; [unrolled: 1-line block ×3, first 2 shown]
	v_fmamk_f32 v73, v103, 0x3f3d2fb0, v116
	v_mul_f32_e32 v117, 0xbf4c4adb, v197
	v_sub_f32_e32 v204, v65, v51
	v_mul_f32_e32 v114, 0xbe8c1d8e, v182
	v_sub_f32_e32 v99, v66, v48
	v_add_f32_e32 v186, v59, v57
	v_add_f32_e32 v43, v73, v43
	v_fmamk_f32 v73, v104, 0xbf1a4643, v117
	v_add_f32_e32 v106, v50, v64
	v_mul_f32_e32 v120, 0x3f65296c, v204
	v_sub_f32_e32 v206, v67, v49
	v_fmamk_f32 v74, v99, 0x3f763a35, v114
	v_mul_f32_e32 v115, 0x3dbcf732, v186
	v_sub_f32_e32 v102, v56, v58
	v_add_f32_e32 v43, v73, v43
	v_fmamk_f32 v73, v106, 0x3ee437d1, v120
	v_add_f32_e32 v105, v48, v66
	v_mul_f32_e32 v123, 0xbf763a35, v206
	v_mul_f32_e32 v137, 0xbf59a7d5, v171
	v_add_f32_e32 v42, v74, v42
	v_fmamk_f32 v74, v102, 0xbf7ee86f, v115
	v_add_f32_e32 v73, v73, v43
	v_fmamk_f32 v75, v105, 0xbe8c1d8e, v123
	v_fmamk_f32 v76, v97, 0x3f06c442, v137
	v_mul_f32_e32 v135, 0x3ee437d1, v165
	v_add_f32_e32 v43, v74, v42
	v_mul_f32_e32 v136, 0x3dbcf732, v150
	v_add_f32_e32 v42, v75, v73
	v_add_f32_e32 v73, v37, v76
	v_fmamk_f32 v74, v93, 0xbf65296c, v135
	v_mul_f32_e32 v132, 0xbf06c442, v194
	v_mul_f32_e32 v148, 0xbf1a4643, v147
	;; [unrolled: 1-line block ×3, first 2 shown]
	v_sub_f32_e32 v213, v57, v59
	v_add_f32_e32 v73, v74, v73
	v_fmamk_f32 v74, v94, 0x3f7ee86f, v136
	v_fmamk_f32 v76, v98, 0xbf59a7d5, v132
	v_mul_f32_e32 v139, 0x3f6eb680, v143
	v_fmamk_f32 v77, v100, 0x3ee437d1, v134
	v_mul_f32_e32 v127, 0xbf7ee86f, v192
	v_add_f32_e32 v73, v74, v73
	v_fmamk_f32 v74, v92, 0xbf4c4adb, v148
	v_add_f32_e32 v76, v36, v76
	v_add_f32_e32 v107, v58, v56
	v_mul_f32_e32 v125, 0x3f7ee86f, v213
	v_mul_f32_e32 v130, 0xbf7ba420, v140
	v_add_f32_e32 v73, v74, v73
	v_fmamk_f32 v74, v95, 0x3eb8f4ab, v139
	v_add_f32_e32 v76, v77, v76
	v_fmamk_f32 v77, v101, 0x3dbcf732, v127
	v_mul_f32_e32 v128, 0x3f4c4adb, v196
	v_fmamk_f32 v75, v107, 0x3dbcf732, v125
	v_add_f32_e32 v73, v74, v73
	v_fmamk_f32 v74, v96, 0x3e3c28d5, v130
	v_mul_f32_e32 v131, 0x3f3d2fb0, v182
	v_add_f32_e32 v76, v77, v76
	v_fmamk_f32 v77, v103, 0xbf1a4643, v128
	v_mul_f32_e32 v122, 0xbeb8f4ab, v197
	v_add_f32_e32 v73, v74, v73
	v_fmamk_f32 v74, v99, 0xbf2c7751, v131
	v_add_f32_e32 v42, v75, v42
	v_add_f32_e32 v75, v77, v76
	v_fmamk_f32 v76, v104, 0x3f6eb680, v122
	v_mul_f32_e32 v124, 0xbe3c28d5, v204
	v_mul_f32_e32 v133, 0xbe8c1d8e, v186
	;; [unrolled: 1-line block ×3, first 2 shown]
	v_add_f32_e32 v73, v74, v73
	v_add_f32_e32 v74, v76, v75
	v_fmamk_f32 v75, v106, 0xbf7ba420, v124
	v_mul_f32_e32 v126, 0x3f2c7751, v206
	v_fmamk_f32 v76, v102, 0x3f763a35, v133
	v_fmamk_f32 v77, v97, 0x3f4c4adb, v151
	v_mul_f32_e32 v152, 0xbe8c1d8e, v165
	v_add_f32_e32 v75, v75, v74
	v_fmamk_f32 v78, v105, 0x3f3d2fb0, v126
	v_add_f32_e32 v74, v76, v73
	v_add_f32_e32 v73, v37, v77
	v_fmamk_f32 v76, v93, 0xbf763a35, v152
	v_mul_f32_e32 v138, 0x3f6eb680, v150
	v_mul_f32_e32 v163, 0xbf4c4adb, v194
	v_add_f32_e32 v75, v78, v75
	v_mul_f32_e32 v153, 0xbf59a7d5, v147
	v_add_f32_e32 v73, v76, v73
	v_fmamk_f32 v76, v94, 0x3eb8f4ab, v138
	v_fmamk_f32 v78, v98, 0xbf1a4643, v163
	v_mul_f32_e32 v166, 0x3f763a35, v195
	v_mul_f32_e32 v158, 0x3dbcf732, v143
	;; [unrolled: 1-line block ×3, first 2 shown]
	v_add_f32_e32 v73, v76, v73
	v_fmamk_f32 v76, v92, 0x3f06c442, v153
	v_add_f32_e32 v78, v36, v78
	v_fmamk_f32 v79, v100, 0xbe8c1d8e, v166
	v_mul_f32_e32 v129, 0xbf763a35, v213
	v_mul_f32_e32 v160, 0x3f3d2fb0, v140
	v_add_f32_e32 v73, v76, v73
	v_fmamk_f32 v76, v95, 0xbf7ee86f, v158
	v_add_f32_e32 v78, v79, v78
	v_fmamk_f32 v79, v101, 0x3f6eb680, v167
	v_mul_f32_e32 v168, 0xbf06c442, v196
	v_fmamk_f32 v77, v107, 0xbe8c1d8e, v129
	v_add_f32_e32 v73, v76, v73
	v_fmamk_f32 v76, v96, 0x3f2c7751, v160
	v_mul_f32_e32 v145, 0xbf7ba420, v182
	v_add_f32_e32 v78, v79, v78
	v_fmamk_f32 v79, v103, 0xbf59a7d5, v168
	v_mul_f32_e32 v169, 0x3f7ee86f, v197
	v_add_f32_e32 v76, v76, v73
	v_fmamk_f32 v80, v99, 0x3e3c28d5, v145
	v_add_f32_e32 v73, v77, v75
	v_add_f32_e32 v75, v79, v78
	v_fmamk_f32 v77, v104, 0x3dbcf732, v169
	v_mul_f32_e32 v161, 0xbf2c7751, v204
	v_mul_f32_e32 v159, 0x3ee437d1, v186
	;; [unrolled: 1-line block ×3, first 2 shown]
	v_add_f32_e32 v76, v80, v76
	v_add_f32_e32 v75, v77, v75
	v_fmamk_f32 v77, v106, 0x3f3d2fb0, v161
	v_mul_f32_e32 v141, 0xbe3c28d5, v206
	v_fmamk_f32 v78, v102, 0xbf65296c, v159
	v_fmamk_f32 v79, v97, 0x3f763a35, v172
	v_mul_f32_e32 v144, 0xbf59a7d5, v165
	v_add_f32_e32 v75, v77, v75
	v_fmamk_f32 v77, v105, 0xbf7ba420, v141
	v_add_f32_e32 v76, v78, v76
	v_add_f32_e32 v78, v37, v79
	v_fmamk_f32 v79, v93, 0xbf06c442, v144
	v_mul_f32_e32 v146, 0x3f3d2fb0, v150
	v_mul_f32_e32 v178, 0xbf763a35, v194
	v_add_f32_e32 v75, v77, v75
	v_mul_f32_e32 v154, 0x3ee437d1, v147
	v_add_f32_e32 v77, v79, v78
	v_fmamk_f32 v78, v94, 0xbf2c7751, v146
	v_fmamk_f32 v80, v98, 0xbe8c1d8e, v178
	v_mul_f32_e32 v180, 0x3f06c442, v195
	v_mul_f32_e32 v155, 0xbf7ba420, v143
	;; [unrolled: 1-line block ×3, first 2 shown]
	v_add_f32_e32 v77, v78, v77
	v_fmamk_f32 v78, v92, 0x3f65296c, v154
	v_add_f32_e32 v80, v36, v80
	v_fmamk_f32 v142, v100, 0xbf59a7d5, v180
	v_mul_f32_e32 v149, 0x3f65296c, v213
	v_mul_f32_e32 v156, 0x3dbcf732, v140
	v_add_f32_e32 v77, v78, v77
	v_fmamk_f32 v78, v95, 0x3e3c28d5, v155
	v_add_f32_e32 v80, v142, v80
	v_fmamk_f32 v142, v101, 0x3f3d2fb0, v181
	v_mul_f32_e32 v174, 0xbf65296c, v196
	v_fmamk_f32 v79, v107, 0x3ee437d1, v149
	v_add_f32_e32 v77, v78, v77
	v_fmamk_f32 v78, v96, 0xbf7ee86f, v156
	v_mul_f32_e32 v157, 0x3f6eb680, v182
	v_add_f32_e32 v80, v142, v80
	v_fmamk_f32 v142, v103, 0x3ee437d1, v174
	v_mul_f32_e32 v175, 0xbe3c28d5, v197
	v_add_f32_e32 v77, v78, v77
	v_fmamk_f32 v78, v99, 0x3eb8f4ab, v157
	v_add_f32_e32 v75, v79, v75
	v_add_f32_e32 v79, v142, v80
	v_fmamk_f32 v80, v104, 0xbf7ba420, v175
	v_mul_f32_e32 v176, 0x3f7ee86f, v204
	v_mul_f32_e32 v142, 0xbf1a4643, v186
	;; [unrolled: 1-line block ×3, first 2 shown]
	v_add_f32_e32 v77, v78, v77
	v_add_f32_e32 v78, v80, v79
	v_fmamk_f32 v79, v106, 0x3dbcf732, v176
	v_fmamk_f32 v80, v102, 0x3f4c4adb, v142
	;; [unrolled: 1-line block ×3, first 2 shown]
	v_mul_f32_e32 v190, 0xbf7ba420, v165
	v_mul_f32_e32 v191, 0xbe8c1d8e, v150
	v_add_f32_e32 v79, v79, v78
	v_add_f32_e32 v78, v80, v77
	;; [unrolled: 1-line block ×3, first 2 shown]
	v_fmamk_f32 v80, v93, 0x3e3c28d5, v190
	v_mul_f32_e32 v164, 0xbeb8f4ab, v206
	v_mul_f32_e32 v199, 0x3f6eb680, v147
	;; [unrolled: 1-line block ×4, first 2 shown]
	v_add_f32_e32 v77, v80, v77
	v_fmamk_f32 v80, v94, 0xbf763a35, v191
	v_fmamk_f32 v170, v105, 0x3f6eb680, v164
	;; [unrolled: 1-line block ×3, first 2 shown]
	v_mul_f32_e32 v198, 0xbe3c28d5, v195
	v_mul_f32_e32 v202, 0xbf59a7d5, v140
	v_add_f32_e32 v77, v80, v77
	v_fmamk_f32 v80, v92, 0xbeb8f4ab, v199
	v_add_f32_e32 v79, v170, v79
	v_mul_f32_e32 v170, 0xbf4c4adb, v213
	v_add_f32_e32 v173, v36, v173
	v_fmamk_f32 v177, v100, 0xbf7ba420, v198
	v_add_f32_e32 v77, v80, v77
	v_fmamk_f32 v80, v95, 0x3f65296c, v201
	v_fmamk_f32 v162, v107, 0xbf1a4643, v170
	v_mul_f32_e32 v200, 0x3f763a35, v192
	v_mul_f32_e32 v185, 0xbf1a4643, v182
	v_add_f32_e32 v173, v177, v173
	v_add_f32_e32 v77, v80, v77
	v_fmamk_f32 v80, v96, 0x3f06c442, v202
	v_fmamk_f32 v177, v101, 0xbe8c1d8e, v200
	v_mul_f32_e32 v183, 0x3eb8f4ab, v196
	v_fmamk_f32 v179, v99, 0xbf4c4adb, v185
	v_mul_f32_e32 v208, 0x3ee437d1, v171
	v_add_f32_e32 v80, v80, v77
	v_add_f32_e32 v77, v162, v79
	v_mul_f32_e32 v162, 0x3f3d2fb0, v186
	v_add_f32_e32 v173, v177, v173
	v_fmamk_f32 v177, v103, 0x3f6eb680, v183
	v_mul_f32_e32 v184, 0xbf65296c, v197
	v_add_f32_e32 v80, v179, v80
	v_fmamk_f32 v188, v102, 0xbf2c7751, v162
	v_fmamk_f32 v203, v97, 0x3f65296c, v208
	v_mul_f32_e32 v187, 0xbf1a4643, v165
	v_mul_f32_e32 v212, 0xbf65296c, v194
	v_add_f32_e32 v79, v177, v173
	v_fmamk_f32 v177, v104, 0x3ee437d1, v184
	v_mul_f32_e32 v173, 0xbf06c442, v204
	v_add_f32_e32 v80, v188, v80
	v_add_f32_e32 v203, v37, v203
	v_fmamk_f32 v205, v93, 0x3f4c4adb, v187
	v_mul_f32_e32 v188, 0xbf7ba420, v150
	v_fmamk_f32 v210, v98, 0x3ee437d1, v212
	v_mul_f32_e32 v214, 0xbf4c4adb, v195
	v_add_f32_e32 v79, v177, v79
	v_fmamk_f32 v179, v106, 0xbf59a7d5, v173
	v_mul_f32_e32 v177, 0x3f4c4adb, v206
	v_add_f32_e32 v203, v205, v203
	;; [unrolled: 3-line block ×4, first 2 shown]
	v_fmamk_f32 v179, v105, 0xbf1a4643, v177
	v_add_f32_e32 v203, v205, v203
	v_fmamk_f32 v205, v92, 0xbf763a35, v207
	v_mul_f32_e32 v209, 0x3f3d2fb0, v143
	v_add_f32_e32 v210, v216, v210
	v_fmamk_f32 v218, v101, 0xbf7ba420, v215
	v_mul_f32_e32 v216, 0x3f763a35, v196
	v_add_f32_e32 v38, v38, v36
	v_add_f32_e32 v79, v179, v79
	v_mul_f32_e32 v179, 0x3f2c7751, v213
	v_add_f32_e32 v203, v205, v203
	v_fmamk_f32 v217, v95, 0xbf2c7751, v209
	v_mul_f32_e32 v205, 0x3f6eb680, v140
	v_add_f32_e32 v218, v218, v210
	v_fmamk_f32 v220, v103, 0xbe8c1d8e, v216
	v_mul_f32_e32 v210, 0x3f2c7751, v197
	v_add_f32_e32 v39, v39, v37
	v_add_f32_e32 v38, v60, v38
	v_fmamk_f32 v211, v107, 0x3f3d2fb0, v179
	v_add_f32_e32 v217, v217, v203
	v_fmamk_f32 v219, v96, 0x3eb8f4ab, v205
	v_mul_f32_e32 v203, 0x3dbcf732, v182
	v_add_f32_e32 v220, v220, v218
	v_fmamk_f32 v221, v104, 0x3f3d2fb0, v210
	v_mul_f32_e32 v218, 0x3f3d2fb0, v171
	v_add_f32_e32 v39, v61, v39
	v_add_f32_e32 v38, v62, v38
	;; [unrolled: 1-line block ×3, first 2 shown]
	v_fmamk_f32 v219, v99, 0x3f7ee86f, v203
	v_add_f32_e32 v79, v211, v79
	v_mul_f32_e32 v211, 0xbeb8f4ab, v204
	v_add_f32_e32 v220, v221, v220
	v_fmamk_f32 v221, v97, 0x3f2c7751, v218
	v_mul_f32_e32 v60, 0x3dbcf732, v165
	v_add_f32_e32 v39, v63, v39
	v_add_f32_e32 v38, v52, v38
	;; [unrolled: 1-line block ×3, first 2 shown]
	v_mul_f32_e32 v217, 0xbf59a7d5, v186
	v_fmamk_f32 v62, v106, 0x3f6eb680, v211
	v_mul_f32_e32 v61, 0xbf7ee86f, v206
	v_add_f32_e32 v221, v37, v221
	v_fmamk_f32 v222, v93, 0x3f7ee86f, v60
	v_add_f32_e32 v39, v53, v39
	v_add_f32_e32 v38, v54, v38
	v_fmamk_f32 v63, v102, 0x3f06c442, v217
	v_add_f32_e32 v62, v62, v220
	;; [unrolled: 3-line block ×3, first 2 shown]
	v_mul_f32_e32 v54, 0xbf2c7751, v194
	v_add_f32_e32 v38, v64, v38
	v_mul_f32_e32 v52, 0xbf1a4643, v150
	v_add_f32_e32 v39, v63, v219
	v_add_f32_e32 v219, v221, v62
	v_fmamk_f32 v63, v98, 0x3f3d2fb0, v54
	v_add_f32_e32 v55, v65, v55
	v_mul_f32_e32 v62, 0xbf7ee86f, v195
	v_add_f32_e32 v38, v66, v38
	v_fmamk_f32 v222, v94, 0x3f4c4adb, v52
	v_add_f32_e32 v65, v36, v63
	v_add_f32_e32 v55, v67, v55
	v_fmamk_f32 v66, v100, 0x3dbcf732, v62
	v_mul_f32_e32 v64, 0xbf7ba420, v147
	v_add_f32_e32 v38, v56, v38
	v_mul_f32_e32 v53, 0xbf06c442, v213
	v_add_f32_e32 v220, v222, v220
	;; [unrolled: 2-line block ×3, first 2 shown]
	v_add_f32_e32 v56, v66, v65
	v_add_f32_e32 v67, v58, v38
	v_fmamk_f32 v38, v92, 0x3e3c28d5, v64
	v_mul_f32_e32 v66, 0xbf59a7d5, v143
	v_fmamk_f32 v221, v107, 0xbf59a7d5, v53
	v_fmamk_f32 v57, v101, 0xbf1a4643, v63
	v_mul_f32_e32 v65, 0xbe3c28d5, v196
	v_add_f32_e32 v59, v59, v55
	v_add_f32_e32 v220, v38, v220
	v_fmamk_f32 v222, v95, 0xbf06c442, v66
	v_mul_f32_e32 v58, 0xbe8c1d8e, v140
	v_add_f32_e32 v55, v57, v56
	v_fmamk_f32 v57, v103, 0xbf7ba420, v65
	v_mul_f32_e32 v56, 0x3f06c442, v197
	v_add_f32_e32 v38, v221, v219
	v_add_f32_e32 v219, v222, v220
	v_fmamk_f32 v220, v96, 0xbf763a35, v58
	v_add_f32_e32 v49, v49, v59
	v_add_f32_e32 v55, v57, v55
	v_fmamk_f32 v223, v104, 0xbf59a7d5, v56
	v_add_f32_e32 v48, v48, v67
	v_add_f32_e32 v219, v220, v219
	;; [unrolled: 1-line block ×3, first 2 shown]
	v_fmac_f32_e32 v113, 0xbe3c28d5, v97
	v_add_f32_e32 v221, v223, v55
	v_add_f32_e32 v223, v50, v48
	v_fmac_f32_e32 v109, 0x3eb8f4ab, v93
	v_add_f32_e32 v45, v45, v220
	v_fmac_f32_e32 v110, 0xbf06c442, v94
	v_fmac_f32_e32 v108, 0x3f2c7751, v92
	v_add_f32_e32 v44, v44, v223
	v_fmac_f32_e32 v137, 0xbf06c442, v97
	v_add_f32_e32 v47, v47, v45
	v_fmac_f32_e32 v111, 0xbf4c4adb, v95
	v_fmac_f32_e32 v135, 0x3f65296c, v93
	v_add_f32_e32 v46, v46, v44
	v_fmac_f32_e32 v112, 0x3f65296c, v96
	v_add_f32_e32 v41, v41, v47
	v_add_f32_e32 v47, v37, v113
	v_fma_f32 v113, 0xbf7ba420, v98, -v118
	v_add_f32_e32 v40, v40, v46
	v_fmac_f32_e32 v136, 0xbf7ee86f, v94
	v_add_f32_e32 v41, v72, v41
	v_add_f32_e32 v46, v109, v47
	;; [unrolled: 1-line block ×3, first 2 shown]
	v_fma_f32 v72, 0x3f6eb680, v100, -v119
	v_add_f32_e32 v40, v71, v40
	v_add_f32_e32 v41, v70, v41
	;; [unrolled: 1-line block ×3, first 2 shown]
	v_fma_f32 v70, 0xbf59a7d5, v101, -v121
	v_add_f32_e32 v47, v72, v47
	v_add_f32_e32 v40, v69, v40
	v_fma_f32 v69, 0x3f3d2fb0, v103, -v116
	v_add_f32_e32 v46, v108, v46
	v_fmac_f32_e32 v114, 0xbf763a35, v99
	v_add_f32_e32 v47, v70, v47
	v_add_f32_e32 v70, v37, v137
	v_fmac_f32_e32 v148, 0x3f4c4adb, v92
	v_add_f32_e32 v46, v111, v46
	v_fmac_f32_e32 v115, 0x3f7ee86f, v102
	v_add_f32_e32 v47, v69, v47
	v_fma_f32 v69, 0xbf1a4643, v104, -v117
	v_add_f32_e32 v70, v135, v70
	v_add_f32_e32 v46, v112, v46
	v_fma_f32 v71, 0xbe8c1d8e, v105, -v123
	v_fmac_f32_e32 v139, 0xbeb8f4ab, v95
	v_add_f32_e32 v47, v69, v47
	v_fma_f32 v69, 0x3ee437d1, v106, -v120
	v_add_f32_e32 v70, v136, v70
	v_add_f32_e32 v46, v114, v46
	v_fmac_f32_e32 v130, 0xbe3c28d5, v96
	v_fma_f32 v108, 0x3ee437d1, v100, -v134
	v_add_f32_e32 v69, v69, v47
	v_add_f32_e32 v70, v148, v70
	;; [unrolled: 1-line block ×3, first 2 shown]
	v_fma_f32 v46, 0xbf59a7d5, v98, -v132
	v_fmac_f32_e32 v151, 0xbf4c4adb, v97
	v_add_f32_e32 v69, v71, v69
	v_fma_f32 v71, 0x3dbcf732, v107, -v125
	v_add_f32_e32 v70, v139, v70
	v_add_f32_e32 v72, v36, v46
	v_fmac_f32_e32 v131, 0x3f2c7751, v99
	v_fmac_f32_e32 v152, 0x3f763a35, v93
	v_add_f32_e32 v46, v71, v69
	v_add_f32_e32 v69, v130, v70
	;; [unrolled: 1-line block ×3, first 2 shown]
	v_fma_f32 v71, 0x3dbcf732, v101, -v127
	v_add_f32_e32 v72, v37, v151
	v_fmac_f32_e32 v133, 0xbf763a35, v102
	v_add_f32_e32 v69, v131, v69
	v_fma_f32 v108, 0xbf1a4643, v103, -v128
	v_add_f32_e32 v71, v71, v70
	v_add_f32_e32 v72, v152, v72
	v_fmac_f32_e32 v138, 0xbeb8f4ab, v94
	v_add_f32_e32 v70, v133, v69
	v_fma_f32 v69, 0xbf1a4643, v98, -v163
	v_add_f32_e32 v71, v108, v71
	v_fma_f32 v108, 0x3f6eb680, v104, -v122
	v_add_f32_e32 v72, v138, v72
	v_fmac_f32_e32 v153, 0xbf06c442, v92
	v_add_f32_e32 v69, v36, v69
	v_fma_f32 v109, 0xbe8c1d8e, v100, -v166
	v_add_f32_e32 v71, v108, v71
	v_fma_f32 v108, 0xbf7ba420, v106, -v124
	;; [unrolled: 6-line block ×4, first 2 shown]
	v_add_f32_e32 v72, v160, v72
	v_fmac_f32_e32 v145, 0xbe3c28d5, v99
	v_add_f32_e32 v109, v109, v69
	v_fma_f32 v110, 0x3dbcf732, v104, -v169
	v_add_f32_e32 v69, v108, v71
	v_fmac_f32_e32 v172, 0xbf763a35, v97
	v_add_f32_e32 v71, v145, v72
	v_fmac_f32_e32 v159, 0x3f65296c, v102
	v_add_f32_e32 v108, v110, v109
	v_fma_f32 v109, 0x3f3d2fb0, v106, -v161
	v_add_f32_e32 v110, v37, v172
	v_fmac_f32_e32 v144, 0x3f06c442, v93
	v_add_f32_e32 v72, v159, v71
	v_fma_f32 v71, 0xbe8c1d8e, v98, -v178
	v_add_f32_e32 v108, v109, v108
	v_fma_f32 v109, 0xbf7ba420, v105, -v141
	v_add_f32_e32 v110, v144, v110
	v_fmac_f32_e32 v146, 0x3f2c7751, v94
	v_add_f32_e32 v71, v36, v71
	v_fma_f32 v111, 0xbf59a7d5, v100, -v180
	;; [unrolled: 6-line block ×3, first 2 shown]
	v_fmac_f32_e32 v189, 0xbf7ee86f, v97
	v_add_f32_e32 v71, v109, v108
	v_add_f32_e32 v108, v154, v110
	v_fmac_f32_e32 v155, 0xbe3c28d5, v95
	v_add_f32_e32 v109, v112, v111
	v_add_f32_e32 v111, v37, v189
	v_fmac_f32_e32 v190, 0xbe3c28d5, v93
	v_fma_f32 v110, 0x3ee437d1, v103, -v174
	v_add_f32_e32 v108, v155, v108
	v_fmac_f32_e32 v156, 0x3f7ee86f, v96
	v_fmac_f32_e32 v191, 0x3f763a35, v94
	v_add_f32_e32 v111, v190, v111
	v_add_f32_e32 v109, v110, v109
	v_fma_f32 v110, 0xbf7ba420, v104, -v175
	v_add_f32_e32 v108, v156, v108
	v_fmac_f32_e32 v157, 0xbeb8f4ab, v99
	v_add_f32_e32 v111, v191, v111
	v_fmac_f32_e32 v199, 0x3eb8f4ab, v92
	v_fma_f32 v112, 0x3dbcf732, v98, -v193
	v_add_f32_e32 v109, v110, v109
	v_fma_f32 v110, 0x3dbcf732, v106, -v176
	v_add_f32_e32 v108, v157, v108
	v_fmac_f32_e32 v142, 0xbf4c4adb, v102
	v_add_f32_e32 v111, v199, v111
	v_fmac_f32_e32 v201, 0xbf65296c, v95
	v_add_f32_e32 v112, v36, v112
	v_fma_f32 v114, 0xbf7ba420, v100, -v198
	v_add_f32_e32 v110, v110, v109
	v_fma_f32 v113, 0x3f6eb680, v105, -v164
	v_add_f32_e32 v109, v142, v108
	v_add_f32_e32 v108, v201, v111
	v_fmac_f32_e32 v202, 0xbf06c442, v96
	v_add_f32_e32 v111, v114, v112
	v_fma_f32 v112, 0xbe8c1d8e, v101, -v200
	v_add_f32_e32 v110, v113, v110
	v_fma_f32 v113, 0xbf1a4643, v107, -v170
	v_add_f32_e32 v114, v202, v108
	v_fmac_f32_e32 v185, 0x3f4c4adb, v99
	v_add_f32_e32 v111, v112, v111
	v_fma_f32 v112, 0x3f6eb680, v103, -v183
	v_add_f32_e32 v108, v113, v110
	v_fma_f32 v115, 0xbf1a4643, v100, -v214
	;; [unrolled: 2-line block ×4, first 2 shown]
	v_fmac_f32_e32 v162, 0x3f2c7751, v102
	v_fma_f32 v116, 0xbf1a4643, v105, -v177
	v_add_f32_e32 v114, v36, v114
	v_fmac_f32_e32 v218, 0xbf2c7751, v97
	v_add_f32_e32 v111, v112, v111
	v_fma_f32 v112, 0xbf59a7d5, v106, -v173
	v_mul_f32_e32 v57, 0x3f763a35, v204
	v_add_f32_e32 v114, v115, v114
	v_fma_f32 v115, 0xbf7ba420, v101, -v215
	v_fmac_f32_e32 v60, 0xbf7ee86f, v93
	v_add_f32_e32 v112, v112, v111
	v_add_f32_e32 v111, v162, v110
	v_fmamk_f32 v222, v106, 0xbe8c1d8e, v57
	v_mul_f32_e32 v59, 0x3f65296c, v206
	v_mul_f32_e32 v67, 0x3f6eb680, v171
	v_add_f32_e32 v110, v116, v112
	v_add_f32_e32 v112, v115, v114
	v_fma_f32 v114, 0xbe8c1d8e, v103, -v216
	v_add_f32_e32 v116, v37, v218
	v_fmac_f32_e32 v52, 0xbf4c4adb, v94
	v_add_f32_e32 v49, v222, v221
	v_fmamk_f32 v221, v105, 0x3ee437d1, v59
	v_add_f32_e32 v112, v114, v112
	v_fma_f32 v114, 0x3f3d2fb0, v104, -v210
	v_add_f32_e32 v60, v60, v116
	v_fmamk_f32 v222, v97, 0x3eb8f4ab, v67
	v_mul_f32_e32 v165, 0x3f3d2fb0, v165
	v_mul_f32_e32 v171, 0xbeb8f4ab, v194
	v_add_f32_e32 v112, v114, v112
	v_fma_f32 v114, 0x3f6eb680, v106, -v211
	v_fma_f32 v61, 0x3dbcf732, v105, -v61
	;; [unrolled: 1-line block ×3, first 2 shown]
	v_add_f32_e32 v52, v52, v60
	v_fmac_f32_e32 v64, 0xbe3c28d5, v92
	v_add_f32_e32 v112, v114, v112
	v_add_f32_e32 v222, v37, v222
	v_fmamk_f32 v224, v93, 0x3f2c7751, v165
	v_mul_f32_e32 v150, 0x3ee437d1, v150
	v_add_f32_e32 v221, v221, v49
	v_fmamk_f32 v49, v98, 0x3f6eb680, v171
	v_mul_f32_e32 v194, 0xbf2c7751, v195
	v_add_f32_e32 v60, v61, v112
	v_add_f32_e32 v54, v36, v54
	v_fma_f32 v61, 0x3dbcf732, v100, -v62
	v_fma_f32 v62, 0xbf59a7d5, v107, -v53
	v_add_f32_e32 v64, v64, v52
	v_fmac_f32_e32 v66, 0x3f06c442, v95
	v_add_f32_e32 v222, v224, v222
	v_fmamk_f32 v224, v94, 0x3f65296c, v150
	v_mul_f32_e32 v147, 0x3dbcf732, v147
	v_add_f32_e32 v49, v36, v49
	v_fmamk_f32 v225, v100, 0x3f3d2fb0, v194
	v_mul_f32_e32 v195, 0xbf65296c, v192
	v_fmac_f32_e32 v208, 0xbf65296c, v97
	v_add_f32_e32 v54, v61, v54
	v_fma_f32 v61, 0xbf1a4643, v101, -v63
	v_add_f32_e32 v52, v62, v60
	v_add_f32_e32 v60, v66, v64
	v_fmac_f32_e32 v58, 0x3f763a35, v96
	v_fmac_f32_e32 v67, 0xbeb8f4ab, v97
	v_fma_f32 v62, 0x3f6eb680, v98, -v171
	v_add_f32_e32 v192, v224, v222
	v_fmamk_f32 v222, v92, 0x3f7ee86f, v147
	v_mul_f32_e32 v143, 0xbe8c1d8e, v143
	v_add_f32_e32 v49, v225, v49
	v_fmamk_f32 v224, v101, 0x3ee437d1, v195
	v_mul_f32_e32 v196, 0xbf7ee86f, v196
	v_add_f32_e32 v113, v37, v208
	v_fmac_f32_e32 v187, 0xbf4c4adb, v93
	v_add_f32_e32 v54, v61, v54
	v_fma_f32 v61, 0xbf7ba420, v103, -v65
	v_add_f32_e32 v58, v58, v60
	v_add_f32_e32 v37, v37, v67
	v_fmac_f32_e32 v165, 0xbf2c7751, v93
	v_add_f32_e32 v36, v36, v62
	v_fma_f32 v60, 0x3f3d2fb0, v100, -v194
	v_mul_f32_e32 v55, 0x3ee437d1, v182
	v_add_f32_e32 v222, v222, v192
	v_fmamk_f32 v225, v95, 0x3f763a35, v143
	v_mul_f32_e32 v192, 0xbf1a4643, v140
	v_add_f32_e32 v49, v224, v49
	v_fmamk_f32 v224, v103, 0x3dbcf732, v196
	v_mul_f32_e32 v197, 0xbf763a35, v197
	v_add_f32_e32 v113, v187, v113
	v_fmac_f32_e32 v188, 0x3e3c28d5, v94
	v_add_f32_e32 v54, v61, v54
	v_fma_f32 v56, 0xbf59a7d5, v104, -v56
	v_add_f32_e32 v37, v165, v37
	v_fmac_f32_e32 v150, 0xbf65296c, v94
	v_add_f32_e32 v36, v60, v36
	v_fma_f32 v60, 0x3ee437d1, v101, -v195
	v_fmamk_f32 v48, v99, 0xbf65296c, v55
	v_mul_f32_e32 v50, 0x3f6eb680, v186
	v_mul_f32_e32 v51, 0x3eb8f4ab, v213
	v_add_f32_e32 v222, v225, v222
	v_fmamk_f32 v225, v96, 0x3f4c4adb, v192
	v_mul_f32_e32 v140, 0xbf59a7d5, v182
	v_add_f32_e32 v49, v224, v49
	v_fmamk_f32 v182, v104, 0xbe8c1d8e, v197
	v_mul_f32_e32 v204, 0xbf4c4adb, v204
	v_add_f32_e32 v113, v188, v113
	v_fmac_f32_e32 v207, 0x3f763a35, v92
	v_add_f32_e32 v54, v56, v54
	v_add_f32_e32 v37, v150, v37
	v_fmac_f32_e32 v147, 0xbf7ee86f, v92
	v_fma_f32 v56, 0xbe8c1d8e, v106, -v57
	v_add_f32_e32 v36, v60, v36
	v_fma_f32 v57, 0x3dbcf732, v103, -v196
	v_add_f32_e32 v48, v48, v219
	v_fmamk_f32 v219, v102, 0xbeb8f4ab, v50
	v_fmamk_f32 v224, v107, 0x3f6eb680, v51
	v_add_f32_e32 v222, v225, v222
	v_fmamk_f32 v225, v99, 0x3f06c442, v140
	v_add_f32_e32 v182, v182, v49
	v_fmamk_f32 v226, v106, 0xbf1a4643, v204
	v_mul_f32_e32 v206, 0xbf06c442, v206
	v_add_f32_e32 v113, v207, v113
	v_fmac_f32_e32 v209, 0x3f2c7751, v95
	v_add_f32_e32 v37, v147, v37
	v_fmac_f32_e32 v143, 0xbf763a35, v95
	v_add_f32_e32 v54, v56, v54
	v_add_f32_e32 v36, v57, v36
	v_fma_f32 v56, 0xbe8c1d8e, v104, -v197
	v_fma_f32 v57, 0x3ee437d1, v105, -v59
	v_add_f32_e32 v49, v219, v48
	v_add_f32_e32 v48, v224, v221
	;; [unrolled: 1-line block ×4, first 2 shown]
	v_fmamk_f32 v222, v105, 0xbf59a7d5, v206
	v_mul_f32_e32 v182, 0xbf7ba420, v186
	v_mul_f32_e32 v186, 0xbe3c28d5, v213
	v_add_f32_e32 v113, v209, v113
	v_fmac_f32_e32 v205, 0xbeb8f4ab, v96
	v_add_f32_e32 v37, v143, v37
	v_fmac_f32_e32 v192, 0xbf4c4adb, v96
	v_add_f32_e32 v36, v56, v36
	v_fma_f32 v56, 0xbf1a4643, v106, -v204
	v_add_f32_e32 v54, v57, v54
	v_mul_lo_u16 v57, v84, 17
	v_add_f32_e32 v213, v222, v221
	v_fmamk_f32 v220, v102, 0x3e3c28d5, v182
	v_fmamk_f32 v44, v107, 0xbf7ba420, v186
	v_add_f32_e32 v113, v205, v113
	v_fmac_f32_e32 v203, 0xbf7ee86f, v99
	v_fmac_f32_e32 v55, 0x3f65296c, v99
	v_add_f32_e32 v37, v192, v37
	v_fmac_f32_e32 v140, 0xbf06c442, v99
	v_add_f32_e32 v36, v56, v36
	v_fma_f32 v56, 0xbf59a7d5, v105, -v206
	v_and_b32_e32 v57, 0xffff, v57
	v_add_f32_e32 v45, v220, v219
	v_add_f32_e32 v44, v44, v213
	v_fma_f32 v115, 0x3f3d2fb0, v107, -v179
	v_add_f32_e32 v113, v203, v113
	v_fmac_f32_e32 v217, 0xbf06c442, v102
	v_add_f32_e32 v55, v55, v58
	v_fmac_f32_e32 v50, 0x3eb8f4ab, v102
	v_fma_f32 v51, 0x3f6eb680, v107, -v51
	v_add_f32_e32 v58, v140, v37
	v_fmac_f32_e32 v182, 0xbe3c28d5, v102
	v_add_f32_e32 v56, v56, v36
	v_fma_f32 v59, 0xbf7ba420, v107, -v186
	v_lshl_add_u32 v57, v57, 3, v85
	v_add_f32_e32 v110, v115, v110
	v_add_f32_e32 v53, v217, v113
	;; [unrolled: 1-line block ×6, first 2 shown]
	ds_write2_b64 v57, v[40:41], v[44:45] offset1:1
	ds_write2_b64 v57, v[48:49], v[38:39] offset0:2 offset1:3
	ds_write2_b64 v57, v[79:80], v[77:78] offset0:4 offset1:5
	;; [unrolled: 1-line block ×7, first 2 shown]
	ds_write_b64 v57, v[50:51] offset:128
.LBB0_13:
	s_or_b32 exec_lo, exec_lo, s0
	s_waitcnt lgkmcnt(0)
	s_barrier
	buffer_gl0_inv
	ds_read2_b64 v[36:39], v86 offset0:34 offset1:51
	ds_read2_b64 v[40:43], v86 offset0:102 offset1:119
	;; [unrolled: 1-line block ×5, first 2 shown]
	ds_read2_b64 v[56:59], v86 offset1:17
	ds_read2_b64 v[60:63], v86 offset0:170 offset1:187
	ds_read_b64 v[64:65], v86 offset:1904
	s_waitcnt lgkmcnt(0)
	s_barrier
	buffer_gl0_inv
	v_mul_f32_e32 v66, v9, v39
	v_mul_f32_e32 v67, v9, v38
	;; [unrolled: 1-line block ×10, first 2 shown]
	v_fmac_f32_e32 v66, v8, v38
	v_fma_f32 v38, v8, v39, -v67
	v_fmac_f32_e32 v69, v10, v40
	v_fmac_f32_e32 v71, v0, v46
	v_fma_f32 v40, v0, v47, -v72
	v_fmac_f32_e32 v73, v2, v48
	v_fmac_f32_e32 v75, v8, v52
	v_fma_f32 v46, v8, v53, -v9
	v_mul_f32_e32 v47, v11, v43
	v_mul_f32_e32 v8, v11, v42
	;; [unrolled: 1-line block ×4, first 2 shown]
	v_fma_f32 v39, v10, v41, -v70
	v_fma_f32 v41, v2, v49, -v74
	v_mul_f32_e32 v49, v3, v51
	v_fmac_f32_e32 v47, v10, v42
	v_fma_f32 v42, v10, v43, -v8
	v_fmac_f32_e32 v48, v0, v60
	v_fma_f32 v43, v0, v61, -v1
	v_mul_f32_e32 v0, v3, v50
	v_mul_f32_e32 v1, v13, v54
	v_fmac_f32_e32 v49, v2, v50
	v_mul_f32_e32 v50, v13, v55
	v_mul_f32_e32 v3, v15, v44
	v_fma_f32 v51, v2, v51, -v0
	v_fma_f32 v53, v12, v55, -v1
	v_mul_f32_e32 v1, v5, v62
	v_add_f32_e32 v2, v56, v66
	v_fmac_f32_e32 v50, v12, v54
	v_add_f32_e32 v0, v69, v71
	v_mul_f32_e32 v54, v5, v63
	v_fma_f32 v60, v4, v63, -v1
	v_add_f32_e32 v1, v2, v69
	v_mul_f32_e32 v52, v15, v45
	v_fma_f32 v45, v14, v45, -v3
	v_mul_f32_e32 v55, v7, v65
	v_fma_f32 v0, -0.5, v0, v56
	v_sub_f32_e32 v3, v38, v41
	v_fmac_f32_e32 v54, v4, v62
	v_sub_f32_e32 v4, v66, v69
	v_sub_f32_e32 v8, v73, v71
	v_add_f32_e32 v9, v66, v73
	v_mul_f32_e32 v7, v7, v64
	v_add_f32_e32 v1, v1, v71
	v_fmac_f32_e32 v55, v6, v64
	v_fmamk_f32 v2, v3, 0xbf737871, v0
	v_sub_f32_e32 v5, v39, v40
	v_add_f32_e32 v10, v4, v8
	v_fma_f32 v4, -0.5, v9, v56
	v_fma_f32 v56, v6, v65, -v7
	v_add_f32_e32 v6, v1, v73
	v_fmac_f32_e32 v0, 0x3f737871, v3
	v_sub_f32_e32 v1, v69, v66
	v_sub_f32_e32 v7, v71, v73
	v_add_f32_e32 v9, v57, v38
	v_add_f32_e32 v11, v39, v40
	v_fmac_f32_e32 v2, 0xbf167918, v5
	v_fmamk_f32 v8, v5, 0x3f737871, v4
	v_fmac_f32_e32 v0, 0x3f167918, v5
	v_add_f32_e32 v7, v1, v7
	v_fmac_f32_e32 v4, 0xbf737871, v5
	v_add_f32_e32 v5, v9, v39
	v_fma_f32 v1, -0.5, v11, v57
	v_sub_f32_e32 v11, v66, v73
	v_fmac_f32_e32 v2, 0x3e9e377a, v10
	v_fmac_f32_e32 v8, 0xbf167918, v3
	;; [unrolled: 1-line block ×4, first 2 shown]
	v_add_f32_e32 v9, v5, v40
	v_fmamk_f32 v3, v11, 0x3f737871, v1
	v_add_f32_e32 v5, v38, v41
	v_sub_f32_e32 v12, v69, v71
	v_sub_f32_e32 v10, v38, v39
	;; [unrolled: 1-line block ×3, first 2 shown]
	v_fmac_f32_e32 v1, 0xbf737871, v11
	v_fmac_f32_e32 v52, v14, v44
	v_fma_f32 v5, -0.5, v5, v57
	v_fmac_f32_e32 v3, 0x3f167918, v12
	v_add_f32_e32 v13, v10, v13
	v_sub_f32_e32 v10, v39, v38
	v_sub_f32_e32 v14, v40, v41
	v_add_f32_e32 v15, v47, v48
	v_fmac_f32_e32 v1, 0xbf167918, v12
	v_add_f32_e32 v38, v58, v75
	v_fmac_f32_e32 v8, 0x3e9e377a, v7
	v_fmac_f32_e32 v4, 0x3e9e377a, v7
	v_add_f32_e32 v7, v9, v41
	v_fmamk_f32 v9, v12, 0xbf737871, v5
	v_fmac_f32_e32 v3, 0x3e9e377a, v13
	v_add_f32_e32 v14, v10, v14
	v_fma_f32 v10, -0.5, v15, v58
	v_sub_f32_e32 v15, v46, v51
	v_fmac_f32_e32 v1, 0x3e9e377a, v13
	v_fmac_f32_e32 v5, 0x3f737871, v12
	v_add_f32_e32 v13, v38, v47
	v_add_f32_e32 v41, v75, v49
	v_fmac_f32_e32 v9, 0x3f167918, v11
	v_fmamk_f32 v12, v15, 0xbf737871, v10
	v_sub_f32_e32 v39, v42, v43
	v_sub_f32_e32 v38, v75, v47
	;; [unrolled: 1-line block ×3, first 2 shown]
	v_fmac_f32_e32 v5, 0xbf167918, v11
	v_add_f32_e32 v11, v13, v48
	v_fma_f32 v58, -0.5, v41, v58
	v_fmac_f32_e32 v10, 0x3f737871, v15
	v_add_f32_e32 v41, v59, v46
	v_fmac_f32_e32 v9, 0x3e9e377a, v14
	v_fmac_f32_e32 v12, 0xbf167918, v39
	v_add_f32_e32 v13, v38, v40
	v_fmac_f32_e32 v5, 0x3e9e377a, v14
	v_add_f32_e32 v14, v11, v49
	v_fmamk_f32 v38, v39, 0x3f737871, v58
	v_sub_f32_e32 v11, v47, v75
	v_sub_f32_e32 v40, v48, v49
	v_fmac_f32_e32 v10, 0x3f167918, v39
	v_add_f32_e32 v44, v42, v43
	v_fmac_f32_e32 v58, 0xbf737871, v39
	v_add_f32_e32 v39, v41, v42
	v_fmac_f32_e32 v38, 0xbf167918, v15
	v_add_f32_e32 v40, v11, v40
	v_fma_f32 v11, -0.5, v44, v59
	v_sub_f32_e32 v41, v75, v49
	v_fmac_f32_e32 v58, 0x3f167918, v15
	v_add_f32_e32 v15, v39, v43
	v_add_f32_e32 v39, v46, v51
	v_fmac_f32_e32 v12, 0x3e9e377a, v13
	v_fmac_f32_e32 v10, 0x3e9e377a, v13
	;; [unrolled: 1-line block ×3, first 2 shown]
	v_fmamk_f32 v13, v41, 0x3f737871, v11
	v_sub_f32_e32 v44, v47, v48
	v_sub_f32_e32 v47, v46, v42
	v_sub_f32_e32 v48, v51, v43
	v_fmac_f32_e32 v58, 0x3e9e377a, v40
	v_fmac_f32_e32 v59, -0.5, v39
	v_fmac_f32_e32 v11, 0xbf737871, v41
	v_sub_f32_e32 v40, v42, v46
	v_sub_f32_e32 v42, v43, v51
	v_add_f32_e32 v43, v52, v54
	v_fmac_f32_e32 v13, 0x3f167918, v44
	v_add_f32_e32 v47, v47, v48
	v_fmamk_f32 v39, v44, 0xbf737871, v59
	v_fmac_f32_e32 v11, 0xbf167918, v44
	v_add_f32_e32 v46, v40, v42
	v_fmac_f32_e32 v59, 0x3f737871, v44
	v_add_f32_e32 v42, v36, v50
	v_fma_f32 v40, -0.5, v43, v36
	v_sub_f32_e32 v43, v53, v56
	v_fmac_f32_e32 v13, 0x3e9e377a, v47
	v_fmac_f32_e32 v39, 0x3f167918, v41
	v_fmac_f32_e32 v11, 0x3e9e377a, v47
	v_fmac_f32_e32 v59, 0xbf167918, v41
	v_add_f32_e32 v41, v42, v52
	v_fmamk_f32 v42, v43, 0xbf737871, v40
	v_sub_f32_e32 v47, v45, v60
	v_sub_f32_e32 v44, v50, v52
	;; [unrolled: 1-line block ×3, first 2 shown]
	v_fmac_f32_e32 v40, 0x3f737871, v43
	v_add_f32_e32 v49, v50, v55
	v_fmac_f32_e32 v42, 0xbf167918, v47
	v_add_f32_e32 v41, v41, v54
	v_add_f32_e32 v48, v44, v48
	v_fmac_f32_e32 v40, 0x3f167918, v47
	v_fma_f32 v36, -0.5, v49, v36
	v_sub_f32_e32 v49, v54, v55
	v_fmac_f32_e32 v39, 0x3e9e377a, v46
	v_fmac_f32_e32 v42, 0x3e9e377a, v48
	;; [unrolled: 1-line block ×3, first 2 shown]
	v_sub_f32_e32 v48, v52, v50
	v_fmac_f32_e32 v59, 0x3e9e377a, v46
	v_add_f32_e32 v44, v41, v55
	v_fmamk_f32 v46, v47, 0x3f737871, v36
	v_add_f32_e32 v41, v45, v60
	v_fmac_f32_e32 v36, 0xbf737871, v47
	v_add_f32_e32 v47, v37, v53
	v_add_f32_e32 v48, v48, v49
	;; [unrolled: 1-line block ×4, first 2 shown]
	v_fma_f32 v41, -0.5, v41, v37
	v_sub_f32_e32 v50, v50, v55
	v_fmac_f32_e32 v46, 0xbf167918, v43
	v_fmac_f32_e32 v36, 0x3f167918, v43
	v_add_f32_e32 v47, v47, v45
	v_sub_f32_e32 v51, v52, v54
	v_fmac_f32_e32 v37, -0.5, v49
	v_fmamk_f32 v43, v50, 0x3f737871, v41
	v_fmac_f32_e32 v46, 0x3e9e377a, v48
	v_fmac_f32_e32 v36, 0x3e9e377a, v48
	v_add_f32_e32 v48, v47, v60
	v_sub_f32_e32 v49, v53, v45
	v_sub_f32_e32 v52, v56, v60
	v_fmac_f32_e32 v41, 0xbf737871, v50
	v_fmamk_f32 v47, v51, 0xbf737871, v37
	v_sub_f32_e32 v45, v45, v53
	v_sub_f32_e32 v53, v60, v56
	v_fmac_f32_e32 v37, 0x3f737871, v51
	v_fmac_f32_e32 v43, 0x3f167918, v51
	v_add_f32_e32 v49, v49, v52
	v_fmac_f32_e32 v41, 0xbf167918, v51
	v_add_f32_e32 v51, v45, v53
	v_fmac_f32_e32 v37, 0xbf167918, v50
	v_fmac_f32_e32 v47, 0x3f167918, v50
	;; [unrolled: 1-line block ×4, first 2 shown]
	v_add_f32_e32 v45, v48, v56
	v_fmac_f32_e32 v37, 0x3e9e377a, v51
	v_fmac_f32_e32 v47, 0x3e9e377a, v51
	ds_write2_b64 v86, v[6:7], v[2:3] offset1:17
	ds_write2_b64 v86, v[8:9], v[4:5] offset0:34 offset1:51
	ds_write2_b64 v86, v[0:1], v[14:15] offset0:68 offset1:85
	ds_write2_b64 v86, v[12:13], v[38:39] offset0:102 offset1:119
	ds_write2_b64 v86, v[58:59], v[10:11] offset0:136 offset1:153
	ds_write2_b64 v87, v[44:45], v[42:43] offset0:170 offset1:187
	ds_write2_b64 v87, v[46:47], v[36:37] offset0:204 offset1:221
	ds_write_b64 v87, v[40:41] offset:1904
	s_waitcnt lgkmcnt(0)
	s_barrier
	buffer_gl0_inv
	ds_read2_b64 v[0:3], v86 offset0:68 offset1:85
	ds_read2_b64 v[4:7], v86 offset0:170 offset1:187
	;; [unrolled: 1-line block ×3, first 2 shown]
	ds_read2_b64 v[12:15], v86 offset1:17
	ds_read2_b64 v[36:39], v86 offset0:34 offset1:51
	ds_read2_b64 v[40:43], v86 offset0:204 offset1:221
	;; [unrolled: 1-line block ×3, first 2 shown]
	ds_read_b64 v[48:49], v86 offset:1904
	s_waitcnt lgkmcnt(7)
	v_mul_f32_e32 v50, v33, v3
	v_mul_f32_e32 v33, v33, v2
	s_waitcnt lgkmcnt(6)
	v_mul_f32_e32 v51, v35, v5
	v_fmac_f32_e32 v50, v32, v2
	v_mul_f32_e32 v2, v35, v4
	v_fma_f32 v3, v32, v3, -v33
	s_waitcnt lgkmcnt(5)
	v_mul_f32_e32 v32, v29, v9
	v_fmac_f32_e32 v51, v34, v4
	v_mul_f32_e32 v4, v29, v8
	v_fma_f32 v5, v34, v5, -v2
	v_mul_f32_e32 v29, v31, v7
	v_fmac_f32_e32 v32, v28, v8
	v_mul_f32_e32 v2, v31, v6
	v_fma_f32 v9, v28, v9, -v4
	v_mul_f32_e32 v28, v25, v11
	v_mul_f32_e32 v4, v25, v10
	v_fmac_f32_e32 v29, v30, v6
	v_fma_f32 v25, v30, v7, -v2
	s_waitcnt lgkmcnt(2)
	v_mul_f32_e32 v30, v27, v41
	v_fmac_f32_e32 v28, v24, v10
	v_mul_f32_e32 v2, v27, v40
	v_fma_f32 v24, v24, v11, -v4
	s_waitcnt lgkmcnt(1)
	v_mul_f32_e32 v4, v21, v44
	v_mul_f32_e32 v27, v21, v45
	v_fmac_f32_e32 v30, v26, v40
	v_fma_f32 v21, v26, v41, -v2
	v_mul_f32_e32 v26, v23, v43
	v_mul_f32_e32 v2, v23, v42
	v_fma_f32 v23, v20, v45, -v4
	v_mul_f32_e32 v4, v17, v46
	v_add_f32_e32 v6, v12, v50
	v_sub_f32_e32 v8, v3, v5
	v_fma_f32 v33, v22, v43, -v2
	s_waitcnt lgkmcnt(0)
	v_mul_f32_e32 v2, v19, v48
	v_fma_f32 v35, v16, v47, -v4
	v_add_f32_e32 v4, v50, v51
	v_add_f32_e32 v7, v3, v5
	;; [unrolled: 1-line block ×3, first 2 shown]
	v_fma_f32 v40, v18, v49, -v2
	v_sub_f32_e32 v11, v50, v51
	v_fma_f32 v2, -0.5, v4, v12
	v_add_f32_e32 v4, v6, v51
	v_fma_f32 v3, -0.5, v7, v13
	v_add_f32_e32 v5, v10, v5
	v_add_f32_e32 v10, v14, v32
	v_fmamk_f32 v6, v8, 0xbf5db3d7, v2
	v_fmac_f32_e32 v2, 0x3f5db3d7, v8
	v_add_f32_e32 v8, v32, v29
	v_sub_f32_e32 v12, v9, v25
	v_fmamk_f32 v7, v11, 0x3f5db3d7, v3
	v_fmac_f32_e32 v3, 0xbf5db3d7, v11
	v_add_f32_e32 v11, v9, v25
	v_fma_f32 v14, -0.5, v8, v14
	v_add_f32_e32 v8, v10, v29
	v_fmac_f32_e32 v27, v20, v44
	v_mul_f32_e32 v31, v17, v47
	v_fmac_f32_e32 v26, v22, v42
	v_fmamk_f32 v10, v12, 0xbf5db3d7, v14
	v_fmac_f32_e32 v14, 0x3f5db3d7, v12
	v_add_f32_e32 v12, v28, v30
	v_mul_f32_e32 v34, v19, v49
	v_add_f32_e32 v9, v15, v9
	v_fmac_f32_e32 v15, -0.5, v11
	v_sub_f32_e32 v13, v32, v29
	v_fma_f32 v12, -0.5, v12, v36
	v_sub_f32_e32 v17, v24, v21
	v_add_f32_e32 v19, v37, v24
	v_fmac_f32_e32 v34, v18, v48
	v_fmamk_f32 v11, v13, 0x3f5db3d7, v15
	v_fmac_f32_e32 v15, 0xbf5db3d7, v13
	v_add_f32_e32 v13, v24, v21
	v_fmamk_f32 v18, v17, 0xbf5db3d7, v12
	v_fmac_f32_e32 v12, 0x3f5db3d7, v17
	v_add_f32_e32 v17, v19, v21
	v_add_f32_e32 v21, v27, v26
	;; [unrolled: 1-line block ×3, first 2 shown]
	v_fmac_f32_e32 v31, v16, v46
	v_fma_f32 v13, -0.5, v13, v37
	v_sub_f32_e32 v20, v28, v30
	v_add_f32_e32 v22, v38, v27
	v_fma_f32 v38, -0.5, v21, v38
	v_sub_f32_e32 v21, v23, v33
	v_add_f32_e32 v23, v39, v23
	v_fmac_f32_e32 v39, -0.5, v24
	v_sub_f32_e32 v24, v27, v26
	v_add_f32_e32 v9, v9, v25
	v_fmamk_f32 v19, v20, 0x3f5db3d7, v13
	v_fmac_f32_e32 v13, 0xbf5db3d7, v20
	v_add_f32_e32 v20, v22, v26
	v_fmamk_f32 v22, v21, 0xbf5db3d7, v38
	v_fmac_f32_e32 v38, 0x3f5db3d7, v21
	v_add_f32_e32 v21, v23, v33
	v_add_f32_e32 v25, v31, v34
	v_fmamk_f32 v23, v24, 0x3f5db3d7, v39
	v_fmac_f32_e32 v39, 0xbf5db3d7, v24
	v_add_f32_e32 v24, v35, v40
	v_add_f32_e32 v16, v36, v28
	;; [unrolled: 1-line block ×3, first 2 shown]
	v_fma_f32 v0, -0.5, v25, v0
	v_sub_f32_e32 v25, v35, v40
	v_add_f32_e32 v27, v1, v35
	v_fmac_f32_e32 v1, -0.5, v24
	v_sub_f32_e32 v28, v31, v34
	v_add_f32_e32 v16, v16, v30
	v_add_f32_e32 v24, v26, v34
	v_fmamk_f32 v26, v25, 0xbf5db3d7, v0
	v_fmac_f32_e32 v0, 0x3f5db3d7, v25
	v_add_f32_e32 v25, v27, v40
	v_fmamk_f32 v27, v28, 0x3f5db3d7, v1
	v_fmac_f32_e32 v1, 0xbf5db3d7, v28
	ds_write2_b64 v88, v[4:5], v[8:9] offset1:17
	ds_write2_b64 v88, v[6:7], v[10:11] offset0:85 offset1:102
	ds_write2_b64 v88, v[2:3], v[14:15] offset0:170 offset1:187
	ds_write_b64 v88, v[16:17] offset:272
	ds_write2_b64 v91, v[18:19], v[12:13] offset0:85 offset1:170
	ds_write_b64 v88, v[20:21] offset:408
	;; [unrolled: 2-line block ×3, first 2 shown]
	ds_write2_b64 v89, v[26:27], v[0:1] offset0:85 offset1:170
	s_waitcnt lgkmcnt(0)
	s_barrier
	buffer_gl0_inv
	s_and_b32 exec_lo, exec_lo, vcc_lo
	s_cbranch_execz .LBB0_15
; %bb.14:
	global_load_dwordx2 v[0:1], v82, s[12:13]
	ds_read_b64 v[2:3], v88
	s_mov_b32 s0, 0x10101010
	s_mov_b32 s1, 0x3f701010
	v_mad_u64_u32 v[6:7], null, s4, v84, 0
	s_mul_i32 s2, s5, 0x78
	s_mul_i32 s3, s4, 0x78
	s_waitcnt vmcnt(0) lgkmcnt(0)
	v_mul_f32_e32 v4, v3, v1
	v_mul_f32_e32 v1, v2, v1
	v_fmac_f32_e32 v4, v2, v0
	v_fma_f32 v2, v0, v3, -v1
	v_cvt_f64_f32_e32 v[0:1], v4
	v_cvt_f64_f32_e32 v[2:3], v2
	v_mad_u64_u32 v[4:5], null, s6, v68, 0
	s_mul_hi_u32 s6, s4, 0x78
	s_add_i32 s2, s6, s2
	v_mad_u64_u32 v[8:9], null, s7, v68, v[5:6]
	v_mad_u64_u32 v[9:10], null, s5, v84, v[7:8]
	v_mov_b32_e32 v5, v8
	v_lshl_add_u32 v10, v83, 3, v82
	v_mul_f64 v[0:1], v[0:1], s[0:1]
	v_mul_f64 v[2:3], v[2:3], s[0:1]
	v_mov_b32_e32 v7, v9
	v_cvt_f32_f64_e32 v0, v[0:1]
	v_cvt_f32_f64_e32 v1, v[2:3]
	v_lshlrev_b64 v[2:3], 3, v[4:5]
	v_lshlrev_b64 v[4:5], 3, v[6:7]
	v_add_co_u32 v8, vcc_lo, s14, v2
	v_add_co_ci_u32_e32 v9, vcc_lo, s15, v3, vcc_lo
	v_add_co_u32 v4, vcc_lo, v8, v4
	v_add_co_ci_u32_e32 v5, vcc_lo, v9, v5, vcc_lo
	global_store_dwordx2 v[4:5], v[0:1], off
	global_load_dwordx2 v[6:7], v82, s[12:13] offset:120
	ds_read2_b64 v[0:3], v10 offset0:15 offset1:30
	v_add_co_u32 v4, vcc_lo, v4, s3
	v_add_co_ci_u32_e32 v5, vcc_lo, s2, v5, vcc_lo
	s_waitcnt vmcnt(0) lgkmcnt(0)
	v_mul_f32_e32 v11, v1, v7
	v_mul_f32_e32 v7, v0, v7
	v_fmac_f32_e32 v11, v0, v6
	v_fma_f32 v6, v6, v1, -v7
	v_cvt_f64_f32_e32 v[0:1], v11
	v_cvt_f64_f32_e32 v[6:7], v6
	v_mul_f64 v[0:1], v[0:1], s[0:1]
	v_mul_f64 v[6:7], v[6:7], s[0:1]
	v_cvt_f32_f64_e32 v0, v[0:1]
	v_cvt_f32_f64_e32 v1, v[6:7]
	global_store_dwordx2 v[4:5], v[0:1], off
	global_load_dwordx2 v[0:1], v82, s[12:13] offset:240
	v_add_co_u32 v4, vcc_lo, v4, s3
	v_add_co_ci_u32_e32 v5, vcc_lo, s2, v5, vcc_lo
	s_waitcnt vmcnt(0)
	v_mul_f32_e32 v6, v3, v1
	v_mul_f32_e32 v1, v2, v1
	v_fmac_f32_e32 v6, v2, v0
	v_fma_f32 v2, v0, v3, -v1
	v_cvt_f64_f32_e32 v[0:1], v6
	v_cvt_f64_f32_e32 v[2:3], v2
	v_mul_f64 v[0:1], v[0:1], s[0:1]
	v_mul_f64 v[2:3], v[2:3], s[0:1]
	v_cvt_f32_f64_e32 v0, v[0:1]
	v_cvt_f32_f64_e32 v1, v[2:3]
	global_store_dwordx2 v[4:5], v[0:1], off
	global_load_dwordx2 v[6:7], v82, s[12:13] offset:360
	ds_read2_b64 v[0:3], v10 offset0:45 offset1:60
	v_add_co_u32 v4, vcc_lo, v4, s3
	v_add_co_ci_u32_e32 v5, vcc_lo, s2, v5, vcc_lo
	s_waitcnt vmcnt(0) lgkmcnt(0)
	v_mul_f32_e32 v11, v1, v7
	v_mul_f32_e32 v7, v0, v7
	v_fmac_f32_e32 v11, v0, v6
	v_fma_f32 v6, v6, v1, -v7
	v_cvt_f64_f32_e32 v[0:1], v11
	v_cvt_f64_f32_e32 v[6:7], v6
	v_mul_f64 v[0:1], v[0:1], s[0:1]
	v_mul_f64 v[6:7], v[6:7], s[0:1]
	v_cvt_f32_f64_e32 v0, v[0:1]
	v_cvt_f32_f64_e32 v1, v[6:7]
	global_store_dwordx2 v[4:5], v[0:1], off
	global_load_dwordx2 v[0:1], v82, s[12:13] offset:480
	v_add_co_u32 v4, vcc_lo, v4, s3
	v_add_co_ci_u32_e32 v5, vcc_lo, s2, v5, vcc_lo
	s_waitcnt vmcnt(0)
	v_mul_f32_e32 v6, v3, v1
	v_mul_f32_e32 v1, v2, v1
	v_fmac_f32_e32 v6, v2, v0
	v_fma_f32 v2, v0, v3, -v1
	v_cvt_f64_f32_e32 v[0:1], v6
	v_cvt_f64_f32_e32 v[2:3], v2
	v_mul_f64 v[0:1], v[0:1], s[0:1]
	v_mul_f64 v[2:3], v[2:3], s[0:1]
	v_cvt_f32_f64_e32 v0, v[0:1]
	v_cvt_f32_f64_e32 v1, v[2:3]
	;; [unrolled: 31-line block ×7, first 2 shown]
	global_store_dwordx2 v[4:5], v[0:1], off
	global_load_dwordx2 v[6:7], v82, s[12:13] offset:1800
	ds_read2_b64 v[0:3], v10 offset0:225 offset1:240
	v_add_co_u32 v4, vcc_lo, v4, s3
	v_add_co_ci_u32_e32 v5, vcc_lo, s2, v5, vcc_lo
	s_waitcnt vmcnt(0) lgkmcnt(0)
	v_mul_f32_e32 v10, v1, v7
	v_mul_f32_e32 v7, v0, v7
	v_fmac_f32_e32 v10, v0, v6
	v_fma_f32 v6, v6, v1, -v7
	v_cvt_f64_f32_e32 v[0:1], v10
	v_cvt_f64_f32_e32 v[6:7], v6
	v_mul_f64 v[0:1], v[0:1], s[0:1]
	v_mul_f64 v[6:7], v[6:7], s[0:1]
	v_cvt_f32_f64_e32 v0, v[0:1]
	v_cvt_f32_f64_e32 v1, v[6:7]
	global_store_dwordx2 v[4:5], v[0:1], off
	global_load_dwordx2 v[0:1], v82, s[12:13] offset:1920
	s_waitcnt vmcnt(0)
	v_mul_f32_e32 v4, v3, v1
	v_mul_f32_e32 v1, v2, v1
	v_fmac_f32_e32 v4, v2, v0
	v_fma_f32 v2, v0, v3, -v1
	v_cvt_f64_f32_e32 v[0:1], v4
	v_cvt_f64_f32_e32 v[2:3], v2
	v_mad_u64_u32 v[4:5], null, s4, v81, 0
	v_mad_u64_u32 v[5:6], null, s5, v81, v[5:6]
	v_mul_f64 v[0:1], v[0:1], s[0:1]
	v_mul_f64 v[2:3], v[2:3], s[0:1]
	v_cvt_f32_f64_e32 v0, v[0:1]
	v_cvt_f32_f64_e32 v1, v[2:3]
	v_lshlrev_b64 v[2:3], 3, v[4:5]
	v_add_co_u32 v2, vcc_lo, v8, v2
	v_add_co_ci_u32_e32 v3, vcc_lo, v9, v3, vcc_lo
	global_store_dwordx2 v[2:3], v[0:1], off
.LBB0_15:
	s_endpgm
	.section	.rodata,"a",@progbits
	.p2align	6, 0x0
	.amdhsa_kernel bluestein_single_back_len255_dim1_sp_op_CI_CI
		.amdhsa_group_segment_fixed_size 6120
		.amdhsa_private_segment_fixed_size 0
		.amdhsa_kernarg_size 104
		.amdhsa_user_sgpr_count 6
		.amdhsa_user_sgpr_private_segment_buffer 1
		.amdhsa_user_sgpr_dispatch_ptr 0
		.amdhsa_user_sgpr_queue_ptr 0
		.amdhsa_user_sgpr_kernarg_segment_ptr 1
		.amdhsa_user_sgpr_dispatch_id 0
		.amdhsa_user_sgpr_flat_scratch_init 0
		.amdhsa_user_sgpr_private_segment_size 0
		.amdhsa_wavefront_size32 1
		.amdhsa_uses_dynamic_stack 0
		.amdhsa_system_sgpr_private_segment_wavefront_offset 0
		.amdhsa_system_sgpr_workgroup_id_x 1
		.amdhsa_system_sgpr_workgroup_id_y 0
		.amdhsa_system_sgpr_workgroup_id_z 0
		.amdhsa_system_sgpr_workgroup_info 0
		.amdhsa_system_vgpr_workitem_id 0
		.amdhsa_next_free_vgpr 227
		.amdhsa_next_free_sgpr 16
		.amdhsa_reserve_vcc 1
		.amdhsa_reserve_flat_scratch 0
		.amdhsa_float_round_mode_32 0
		.amdhsa_float_round_mode_16_64 0
		.amdhsa_float_denorm_mode_32 3
		.amdhsa_float_denorm_mode_16_64 3
		.amdhsa_dx10_clamp 1
		.amdhsa_ieee_mode 1
		.amdhsa_fp16_overflow 0
		.amdhsa_workgroup_processor_mode 1
		.amdhsa_memory_ordered 1
		.amdhsa_forward_progress 0
		.amdhsa_shared_vgpr_count 0
		.amdhsa_exception_fp_ieee_invalid_op 0
		.amdhsa_exception_fp_denorm_src 0
		.amdhsa_exception_fp_ieee_div_zero 0
		.amdhsa_exception_fp_ieee_overflow 0
		.amdhsa_exception_fp_ieee_underflow 0
		.amdhsa_exception_fp_ieee_inexact 0
		.amdhsa_exception_int_div_zero 0
	.end_amdhsa_kernel
	.text
.Lfunc_end0:
	.size	bluestein_single_back_len255_dim1_sp_op_CI_CI, .Lfunc_end0-bluestein_single_back_len255_dim1_sp_op_CI_CI
                                        ; -- End function
	.section	.AMDGPU.csdata,"",@progbits
; Kernel info:
; codeLenInByte = 18456
; NumSgprs: 18
; NumVgprs: 227
; ScratchSize: 0
; MemoryBound: 0
; FloatMode: 240
; IeeeMode: 1
; LDSByteSize: 6120 bytes/workgroup (compile time only)
; SGPRBlocks: 2
; VGPRBlocks: 28
; NumSGPRsForWavesPerEU: 18
; NumVGPRsForWavesPerEU: 227
; Occupancy: 4
; WaveLimiterHint : 1
; COMPUTE_PGM_RSRC2:SCRATCH_EN: 0
; COMPUTE_PGM_RSRC2:USER_SGPR: 6
; COMPUTE_PGM_RSRC2:TRAP_HANDLER: 0
; COMPUTE_PGM_RSRC2:TGID_X_EN: 1
; COMPUTE_PGM_RSRC2:TGID_Y_EN: 0
; COMPUTE_PGM_RSRC2:TGID_Z_EN: 0
; COMPUTE_PGM_RSRC2:TIDIG_COMP_CNT: 0
	.text
	.p2alignl 6, 3214868480
	.fill 48, 4, 3214868480
	.type	__hip_cuid_ae5c6d3ca8909cf,@object ; @__hip_cuid_ae5c6d3ca8909cf
	.section	.bss,"aw",@nobits
	.globl	__hip_cuid_ae5c6d3ca8909cf
__hip_cuid_ae5c6d3ca8909cf:
	.byte	0                               ; 0x0
	.size	__hip_cuid_ae5c6d3ca8909cf, 1

	.ident	"AMD clang version 19.0.0git (https://github.com/RadeonOpenCompute/llvm-project roc-6.4.0 25133 c7fe45cf4b819c5991fe208aaa96edf142730f1d)"
	.section	".note.GNU-stack","",@progbits
	.addrsig
	.addrsig_sym __hip_cuid_ae5c6d3ca8909cf
	.amdgpu_metadata
---
amdhsa.kernels:
  - .args:
      - .actual_access:  read_only
        .address_space:  global
        .offset:         0
        .size:           8
        .value_kind:     global_buffer
      - .actual_access:  read_only
        .address_space:  global
        .offset:         8
        .size:           8
        .value_kind:     global_buffer
      - .actual_access:  read_only
        .address_space:  global
        .offset:         16
        .size:           8
        .value_kind:     global_buffer
      - .actual_access:  read_only
        .address_space:  global
        .offset:         24
        .size:           8
        .value_kind:     global_buffer
      - .actual_access:  read_only
        .address_space:  global
        .offset:         32
        .size:           8
        .value_kind:     global_buffer
      - .offset:         40
        .size:           8
        .value_kind:     by_value
      - .address_space:  global
        .offset:         48
        .size:           8
        .value_kind:     global_buffer
      - .address_space:  global
        .offset:         56
        .size:           8
        .value_kind:     global_buffer
      - .address_space:  global
        .offset:         64
        .size:           8
        .value_kind:     global_buffer
      - .address_space:  global
        .offset:         72
        .size:           8
        .value_kind:     global_buffer
      - .offset:         80
        .size:           4
        .value_kind:     by_value
      - .address_space:  global
        .offset:         88
        .size:           8
        .value_kind:     global_buffer
      - .address_space:  global
        .offset:         96
        .size:           8
        .value_kind:     global_buffer
    .group_segment_fixed_size: 6120
    .kernarg_segment_align: 8
    .kernarg_segment_size: 104
    .language:       OpenCL C
    .language_version:
      - 2
      - 0
    .max_flat_workgroup_size: 51
    .name:           bluestein_single_back_len255_dim1_sp_op_CI_CI
    .private_segment_fixed_size: 0
    .sgpr_count:     18
    .sgpr_spill_count: 0
    .symbol:         bluestein_single_back_len255_dim1_sp_op_CI_CI.kd
    .uniform_work_group_size: 1
    .uses_dynamic_stack: false
    .vgpr_count:     227
    .vgpr_spill_count: 0
    .wavefront_size: 32
    .workgroup_processor_mode: 1
amdhsa.target:   amdgcn-amd-amdhsa--gfx1030
amdhsa.version:
  - 1
  - 2
...

	.end_amdgpu_metadata
